;; amdgpu-corpus repo=ROCm/rocFFT kind=compiled arch=gfx906 opt=O3
	.text
	.amdgcn_target "amdgcn-amd-amdhsa--gfx906"
	.amdhsa_code_object_version 6
	.protected	fft_rtc_back_len1430_factors_13_11_10_wgs_143_tpt_143_dp_op_CI_CI_unitstride_sbrr_C2R_dirReg ; -- Begin function fft_rtc_back_len1430_factors_13_11_10_wgs_143_tpt_143_dp_op_CI_CI_unitstride_sbrr_C2R_dirReg
	.globl	fft_rtc_back_len1430_factors_13_11_10_wgs_143_tpt_143_dp_op_CI_CI_unitstride_sbrr_C2R_dirReg
	.p2align	8
	.type	fft_rtc_back_len1430_factors_13_11_10_wgs_143_tpt_143_dp_op_CI_CI_unitstride_sbrr_C2R_dirReg,@function
fft_rtc_back_len1430_factors_13_11_10_wgs_143_tpt_143_dp_op_CI_CI_unitstride_sbrr_C2R_dirReg: ; @fft_rtc_back_len1430_factors_13_11_10_wgs_143_tpt_143_dp_op_CI_CI_unitstride_sbrr_C2R_dirReg
; %bb.0:
	s_load_dwordx4 s[8:11], s[4:5], 0x58
	s_load_dwordx4 s[12:15], s[4:5], 0x0
	;; [unrolled: 1-line block ×3, first 2 shown]
	v_mul_u32_u24_e32 v1, 0x1cb, v0
	v_add_u32_sdwa v5, s6, v1 dst_sel:DWORD dst_unused:UNUSED_PAD src0_sel:DWORD src1_sel:WORD_1
	v_mov_b32_e32 v3, 0
	s_waitcnt lgkmcnt(0)
	v_cmp_lt_u64_e64 s[0:1], s[14:15], 2
	v_mov_b32_e32 v1, 0
	v_mov_b32_e32 v6, v3
	s_and_b64 vcc, exec, s[0:1]
	v_mov_b32_e32 v2, 0
	s_cbranch_vccnz .LBB0_8
; %bb.1:
	s_load_dwordx2 s[0:1], s[4:5], 0x10
	s_add_u32 s2, s18, 8
	s_addc_u32 s3, s19, 0
	s_add_u32 s6, s16, 8
	v_mov_b32_e32 v1, 0
	s_addc_u32 s7, s17, 0
	v_mov_b32_e32 v2, 0
	s_waitcnt lgkmcnt(0)
	s_add_u32 s20, s0, 8
	v_mov_b32_e32 v49, v2
	s_addc_u32 s21, s1, 0
	s_mov_b64 s[22:23], 1
	v_mov_b32_e32 v48, v1
.LBB0_2:                                ; =>This Inner Loop Header: Depth=1
	s_load_dwordx2 s[24:25], s[20:21], 0x0
                                        ; implicit-def: $vgpr50_vgpr51
	s_waitcnt lgkmcnt(0)
	v_or_b32_e32 v4, s25, v6
	v_cmp_ne_u64_e32 vcc, 0, v[3:4]
	s_and_saveexec_b64 s[0:1], vcc
	s_xor_b64 s[26:27], exec, s[0:1]
	s_cbranch_execz .LBB0_4
; %bb.3:                                ;   in Loop: Header=BB0_2 Depth=1
	v_cvt_f32_u32_e32 v4, s24
	v_cvt_f32_u32_e32 v7, s25
	s_sub_u32 s0, 0, s24
	s_subb_u32 s1, 0, s25
	v_mac_f32_e32 v4, 0x4f800000, v7
	v_rcp_f32_e32 v4, v4
	v_mul_f32_e32 v4, 0x5f7ffffc, v4
	v_mul_f32_e32 v7, 0x2f800000, v4
	v_trunc_f32_e32 v7, v7
	v_mac_f32_e32 v4, 0xcf800000, v7
	v_cvt_u32_f32_e32 v7, v7
	v_cvt_u32_f32_e32 v4, v4
	v_mul_lo_u32 v8, s0, v7
	v_mul_hi_u32 v9, s0, v4
	v_mul_lo_u32 v11, s1, v4
	v_mul_lo_u32 v10, s0, v4
	v_add_u32_e32 v8, v9, v8
	v_add_u32_e32 v8, v8, v11
	v_mul_hi_u32 v9, v4, v10
	v_mul_lo_u32 v11, v4, v8
	v_mul_hi_u32 v13, v4, v8
	v_mul_hi_u32 v12, v7, v10
	v_mul_lo_u32 v10, v7, v10
	v_mul_hi_u32 v14, v7, v8
	v_add_co_u32_e32 v9, vcc, v9, v11
	v_addc_co_u32_e32 v11, vcc, 0, v13, vcc
	v_mul_lo_u32 v8, v7, v8
	v_add_co_u32_e32 v9, vcc, v9, v10
	v_addc_co_u32_e32 v9, vcc, v11, v12, vcc
	v_addc_co_u32_e32 v10, vcc, 0, v14, vcc
	v_add_co_u32_e32 v8, vcc, v9, v8
	v_addc_co_u32_e32 v9, vcc, 0, v10, vcc
	v_add_co_u32_e32 v4, vcc, v4, v8
	v_addc_co_u32_e32 v7, vcc, v7, v9, vcc
	v_mul_lo_u32 v8, s0, v7
	v_mul_hi_u32 v9, s0, v4
	v_mul_lo_u32 v10, s1, v4
	v_mul_lo_u32 v11, s0, v4
	v_add_u32_e32 v8, v9, v8
	v_add_u32_e32 v8, v8, v10
	v_mul_lo_u32 v12, v4, v8
	v_mul_hi_u32 v13, v4, v11
	v_mul_hi_u32 v14, v4, v8
	v_mul_hi_u32 v10, v7, v11
	v_mul_lo_u32 v11, v7, v11
	v_mul_hi_u32 v9, v7, v8
	v_add_co_u32_e32 v12, vcc, v13, v12
	v_addc_co_u32_e32 v13, vcc, 0, v14, vcc
	v_mul_lo_u32 v8, v7, v8
	v_add_co_u32_e32 v11, vcc, v12, v11
	v_addc_co_u32_e32 v10, vcc, v13, v10, vcc
	v_addc_co_u32_e32 v9, vcc, 0, v9, vcc
	v_add_co_u32_e32 v8, vcc, v10, v8
	v_addc_co_u32_e32 v9, vcc, 0, v9, vcc
	v_add_co_u32_e32 v4, vcc, v4, v8
	v_addc_co_u32_e32 v9, vcc, v7, v9, vcc
	v_mad_u64_u32 v[7:8], s[0:1], v5, v9, 0
	v_mul_hi_u32 v10, v5, v4
	v_add_co_u32_e32 v11, vcc, v10, v7
	v_addc_co_u32_e32 v12, vcc, 0, v8, vcc
	v_mad_u64_u32 v[7:8], s[0:1], v6, v4, 0
	v_mad_u64_u32 v[9:10], s[0:1], v6, v9, 0
	v_add_co_u32_e32 v4, vcc, v11, v7
	v_addc_co_u32_e32 v4, vcc, v12, v8, vcc
	v_addc_co_u32_e32 v7, vcc, 0, v10, vcc
	v_add_co_u32_e32 v4, vcc, v4, v9
	v_addc_co_u32_e32 v9, vcc, 0, v7, vcc
	v_mul_lo_u32 v10, s25, v4
	v_mul_lo_u32 v11, s24, v9
	v_mad_u64_u32 v[7:8], s[0:1], s24, v4, 0
	v_add3_u32 v8, v8, v11, v10
	v_sub_u32_e32 v10, v6, v8
	v_mov_b32_e32 v11, s25
	v_sub_co_u32_e32 v7, vcc, v5, v7
	v_subb_co_u32_e64 v10, s[0:1], v10, v11, vcc
	v_subrev_co_u32_e64 v11, s[0:1], s24, v7
	v_subbrev_co_u32_e64 v10, s[0:1], 0, v10, s[0:1]
	v_cmp_le_u32_e64 s[0:1], s25, v10
	v_cndmask_b32_e64 v12, 0, -1, s[0:1]
	v_cmp_le_u32_e64 s[0:1], s24, v11
	v_cndmask_b32_e64 v11, 0, -1, s[0:1]
	v_cmp_eq_u32_e64 s[0:1], s25, v10
	v_cndmask_b32_e64 v10, v12, v11, s[0:1]
	v_add_co_u32_e64 v11, s[0:1], 2, v4
	v_addc_co_u32_e64 v12, s[0:1], 0, v9, s[0:1]
	v_add_co_u32_e64 v13, s[0:1], 1, v4
	v_addc_co_u32_e64 v14, s[0:1], 0, v9, s[0:1]
	v_subb_co_u32_e32 v8, vcc, v6, v8, vcc
	v_cmp_ne_u32_e64 s[0:1], 0, v10
	v_cmp_le_u32_e32 vcc, s25, v8
	v_cndmask_b32_e64 v10, v14, v12, s[0:1]
	v_cndmask_b32_e64 v12, 0, -1, vcc
	v_cmp_le_u32_e32 vcc, s24, v7
	v_cndmask_b32_e64 v7, 0, -1, vcc
	v_cmp_eq_u32_e32 vcc, s25, v8
	v_cndmask_b32_e32 v7, v12, v7, vcc
	v_cmp_ne_u32_e32 vcc, 0, v7
	v_cndmask_b32_e64 v7, v13, v11, s[0:1]
	v_cndmask_b32_e32 v51, v9, v10, vcc
	v_cndmask_b32_e32 v50, v4, v7, vcc
.LBB0_4:                                ;   in Loop: Header=BB0_2 Depth=1
	s_andn2_saveexec_b64 s[0:1], s[26:27]
	s_cbranch_execz .LBB0_6
; %bb.5:                                ;   in Loop: Header=BB0_2 Depth=1
	v_cvt_f32_u32_e32 v4, s24
	s_sub_i32 s26, 0, s24
	v_mov_b32_e32 v51, v3
	v_rcp_iflag_f32_e32 v4, v4
	v_mul_f32_e32 v4, 0x4f7ffffe, v4
	v_cvt_u32_f32_e32 v4, v4
	v_mul_lo_u32 v7, s26, v4
	v_mul_hi_u32 v7, v4, v7
	v_add_u32_e32 v4, v4, v7
	v_mul_hi_u32 v4, v5, v4
	v_mul_lo_u32 v7, v4, s24
	v_add_u32_e32 v8, 1, v4
	v_sub_u32_e32 v7, v5, v7
	v_subrev_u32_e32 v9, s24, v7
	v_cmp_le_u32_e32 vcc, s24, v7
	v_cndmask_b32_e32 v7, v7, v9, vcc
	v_cndmask_b32_e32 v4, v4, v8, vcc
	v_add_u32_e32 v8, 1, v4
	v_cmp_le_u32_e32 vcc, s24, v7
	v_cndmask_b32_e32 v50, v4, v8, vcc
.LBB0_6:                                ;   in Loop: Header=BB0_2 Depth=1
	s_or_b64 exec, exec, s[0:1]
	v_mul_lo_u32 v4, v51, s24
	v_mul_lo_u32 v9, v50, s25
	v_mad_u64_u32 v[7:8], s[0:1], v50, s24, 0
	s_load_dwordx2 s[0:1], s[6:7], 0x0
	s_load_dwordx2 s[24:25], s[2:3], 0x0
	v_add3_u32 v4, v8, v9, v4
	v_sub_co_u32_e32 v5, vcc, v5, v7
	v_subb_co_u32_e32 v4, vcc, v6, v4, vcc
	s_waitcnt lgkmcnt(0)
	v_mul_lo_u32 v6, s0, v4
	v_mul_lo_u32 v7, s1, v5
	v_mad_u64_u32 v[1:2], s[0:1], s0, v5, v[1:2]
	v_mul_lo_u32 v4, s24, v4
	v_mul_lo_u32 v8, s25, v5
	v_mad_u64_u32 v[48:49], s[0:1], s24, v5, v[48:49]
	s_add_u32 s22, s22, 1
	s_addc_u32 s23, s23, 0
	s_add_u32 s2, s2, 8
	v_add3_u32 v49, v8, v49, v4
	s_addc_u32 s3, s3, 0
	v_mov_b32_e32 v4, s14
	s_add_u32 s6, s6, 8
	v_mov_b32_e32 v5, s15
	s_addc_u32 s7, s7, 0
	v_cmp_ge_u64_e32 vcc, s[22:23], v[4:5]
	s_add_u32 s20, s20, 8
	v_add3_u32 v2, v7, v2, v6
	s_addc_u32 s21, s21, 0
	s_cbranch_vccnz .LBB0_9
; %bb.7:                                ;   in Loop: Header=BB0_2 Depth=1
	v_mov_b32_e32 v5, v50
	v_mov_b32_e32 v6, v51
	s_branch .LBB0_2
.LBB0_8:
	v_mov_b32_e32 v49, v2
	v_mov_b32_e32 v51, v6
	;; [unrolled: 1-line block ×4, first 2 shown]
.LBB0_9:
	s_load_dwordx2 s[4:5], s[4:5], 0x28
	s_lshl_b64 s[6:7], s[14:15], 3
	s_add_u32 s2, s18, s6
	s_addc_u32 s3, s19, s7
                                        ; implicit-def: $vgpr52
	s_waitcnt lgkmcnt(0)
	v_cmp_gt_u64_e64 s[0:1], s[4:5], v[50:51]
	v_cmp_le_u64_e32 vcc, s[4:5], v[50:51]
	s_and_saveexec_b64 s[4:5], vcc
	s_xor_b64 s[4:5], exec, s[4:5]
; %bb.10:
	s_mov_b32 s14, 0x1ca4b31
	v_mul_hi_u32 v1, v0, s14
	v_mul_u32_u24_e32 v1, 0x8f, v1
	v_sub_u32_e32 v52, v0, v1
                                        ; implicit-def: $vgpr0
                                        ; implicit-def: $vgpr1_vgpr2
; %bb.11:
	s_or_saveexec_b64 s[4:5], s[4:5]
	s_load_dwordx2 s[2:3], s[2:3], 0x0
	s_xor_b64 exec, exec, s[4:5]
	s_cbranch_execz .LBB0_15
; %bb.12:
	s_add_u32 s6, s16, s6
	s_addc_u32 s7, s17, s7
	s_load_dwordx2 s[6:7], s[6:7], 0x0
	s_mov_b32 s14, 0x1ca4b31
	v_mul_hi_u32 v5, v0, s14
	v_lshlrev_b64 v[1:2], 4, v[1:2]
	s_waitcnt lgkmcnt(0)
	v_mul_lo_u32 v6, s7, v50
	v_mul_lo_u32 v7, s6, v51
	v_mad_u64_u32 v[3:4], s[6:7], s6, v50, 0
	v_mul_u32_u24_e32 v5, 0x8f, v5
	v_sub_u32_e32 v52, v0, v5
	v_add3_u32 v4, v4, v7, v6
	v_lshlrev_b64 v[3:4], 4, v[3:4]
	v_mov_b32_e32 v0, s9
	v_add_co_u32_e32 v3, vcc, s8, v3
	v_addc_co_u32_e32 v0, vcc, v0, v4, vcc
	v_add_co_u32_e32 v1, vcc, v3, v1
	v_addc_co_u32_e32 v0, vcc, v0, v2, vcc
	v_lshlrev_b32_e32 v53, 4, v52
	v_add_co_u32_e32 v26, vcc, v1, v53
	v_addc_co_u32_e32 v27, vcc, 0, v0, vcc
	s_movk_i32 s6, 0x1000
	v_add_co_u32_e32 v18, vcc, s6, v26
	v_addc_co_u32_e32 v19, vcc, 0, v27, vcc
	s_movk_i32 s6, 0x2000
	;; [unrolled: 3-line block ×3, first 2 shown]
	v_add_co_u32_e32 v42, vcc, s6, v26
	v_addc_co_u32_e32 v43, vcc, 0, v27, vcc
	v_add_co_u32_e32 v44, vcc, 0x4000, v26
	v_addc_co_u32_e32 v45, vcc, 0, v27, vcc
	v_add_co_u32_e32 v46, vcc, 0x5000, v26
	global_load_dwordx4 v[2:5], v[26:27], off
	global_load_dwordx4 v[6:9], v[26:27], off offset:2288
	global_load_dwordx4 v[10:13], v[18:19], off offset:480
	;; [unrolled: 1-line block ×3, first 2 shown]
	s_nop 0
	global_load_dwordx4 v[18:21], v[28:29], off offset:960
	global_load_dwordx4 v[22:25], v[28:29], off offset:3248
	v_addc_co_u32_e32 v47, vcc, 0, v27, vcc
	global_load_dwordx4 v[26:29], v[42:43], off offset:1440
	global_load_dwordx4 v[30:33], v[42:43], off offset:3728
	;; [unrolled: 1-line block ×4, first 2 shown]
	s_movk_i32 s6, 0x8e
	v_add_u32_e32 v42, 0, v53
	v_cmp_eq_u32_e32 vcc, s6, v52
	s_waitcnt vmcnt(9)
	ds_write_b128 v42, v[2:5]
	s_waitcnt vmcnt(8)
	ds_write_b128 v42, v[6:9] offset:2288
	s_waitcnt vmcnt(7)
	ds_write_b128 v42, v[10:13] offset:4576
	;; [unrolled: 2-line block ×9, first 2 shown]
	s_and_saveexec_b64 s[6:7], vcc
	s_cbranch_execz .LBB0_14
; %bb.13:
	v_add_co_u32_e32 v1, vcc, 0x5000, v1
	v_addc_co_u32_e32 v2, vcc, 0, v0, vcc
	global_load_dwordx4 v[0:3], v[1:2], off offset:2400
	v_mov_b32_e32 v4, 0
	v_mov_b32_e32 v52, 0x8e
	s_waitcnt vmcnt(0)
	ds_write_b128 v4, v[0:3] offset:22880
.LBB0_14:
	s_or_b64 exec, exec, s[6:7]
.LBB0_15:
	s_or_b64 exec, exec, s[4:5]
	v_lshlrev_b32_e32 v0, 4, v52
	v_add_u32_e32 v125, 0, v0
	s_waitcnt lgkmcnt(0)
	s_barrier
	v_sub_u32_e32 v16, 0, v0
	ds_read_b64 v[6:7], v125
	ds_read_b64 v[8:9], v16 offset:22880
	s_add_u32 s6, s12, 0x5890
	s_addc_u32 s7, s13, 0
	v_cmp_ne_u32_e32 vcc, 0, v52
                                        ; implicit-def: $vgpr4_vgpr5
	s_waitcnt lgkmcnt(0)
	v_add_f64 v[0:1], v[6:7], v[8:9]
	v_add_f64 v[2:3], v[6:7], -v[8:9]
	s_and_saveexec_b64 s[4:5], vcc
	s_xor_b64 s[4:5], exec, s[4:5]
	s_cbranch_execz .LBB0_17
; %bb.16:
	v_mov_b32_e32 v53, 0
	v_lshlrev_b64 v[0:1], 4, v[52:53]
	v_mov_b32_e32 v2, s7
	v_add_co_u32_e32 v0, vcc, s6, v0
	v_addc_co_u32_e32 v1, vcc, v2, v1, vcc
	global_load_dwordx4 v[2:5], v[0:1], off
	ds_read_b64 v[0:1], v16 offset:22888
	ds_read_b64 v[10:11], v125 offset:8
	v_add_f64 v[12:13], v[6:7], v[8:9]
	v_add_f64 v[8:9], v[6:7], -v[8:9]
	s_waitcnt lgkmcnt(0)
	v_add_f64 v[14:15], v[0:1], v[10:11]
	v_add_f64 v[0:1], v[10:11], -v[0:1]
	s_waitcnt vmcnt(0)
	v_fma_f64 v[6:7], -v[8:9], v[4:5], v[12:13]
	v_fma_f64 v[10:11], v[14:15], v[4:5], -v[0:1]
	v_fma_f64 v[12:13], v[8:9], v[4:5], v[12:13]
	v_fma_f64 v[17:18], v[14:15], v[4:5], v[0:1]
	;; [unrolled: 1-line block ×4, first 2 shown]
	v_fma_f64 v[0:1], -v[14:15], v[2:3], v[12:13]
	v_fma_f64 v[2:3], v[8:9], v[2:3], v[17:18]
	ds_write_b128 v16, v[4:7] offset:22880
	v_mov_b32_e32 v4, v52
	v_mov_b32_e32 v5, v53
.LBB0_17:
	s_andn2_saveexec_b64 s[4:5], s[4:5]
	s_cbranch_execz .LBB0_19
; %bb.18:
	v_mov_b32_e32 v12, 0
	ds_read_b128 v[4:7], v12 offset:11440
	s_waitcnt lgkmcnt(0)
	v_add_f64 v[8:9], v[4:5], v[4:5]
	v_mul_f64 v[10:11], v[6:7], -2.0
	v_mov_b32_e32 v4, 0
	v_mov_b32_e32 v5, 0
	ds_write_b128 v12, v[8:11] offset:11440
.LBB0_19:
	s_or_b64 exec, exec, s[4:5]
	v_lshlrev_b64 v[4:5], 4, v[4:5]
	v_mov_b32_e32 v6, s7
	v_add_co_u32_e32 v21, vcc, s6, v4
	v_addc_co_u32_e32 v22, vcc, v6, v5, vcc
	global_load_dwordx4 v[8:11], v[21:22], off offset:2288
	s_movk_i32 s4, 0x1000
	v_add_co_u32_e32 v4, vcc, s4, v21
	v_addc_co_u32_e32 v5, vcc, 0, v22, vcc
	global_load_dwordx4 v[12:15], v[4:5], off offset:480
	ds_write_b128 v125, v[0:3]
	ds_read_b128 v[0:3], v125 offset:2288
	ds_read_b128 v[17:20], v16 offset:20592
	global_load_dwordx4 v[4:7], v[4:5], off offset:2768
	s_movk_i32 s4, 0x2000
	s_mov_b32 s26, 0x4267c47c
	s_mov_b32 s22, 0x42a4c3d2
	s_waitcnt lgkmcnt(0)
	v_add_f64 v[23:24], v[0:1], v[17:18]
	v_add_f64 v[25:26], v[19:20], v[2:3]
	v_add_f64 v[27:28], v[0:1], -v[17:18]
	v_add_f64 v[0:1], v[2:3], -v[19:20]
	s_mov_b32 s27, 0xbfddbe06
	s_mov_b32 s23, 0xbfea55e2
	;; [unrolled: 1-line block ×32, first 2 shown]
	s_waitcnt vmcnt(2)
	v_fma_f64 v[2:3], v[27:28], v[10:11], v[23:24]
	v_fma_f64 v[17:18], v[25:26], v[10:11], v[0:1]
	v_fma_f64 v[19:20], -v[27:28], v[10:11], v[23:24]
	v_fma_f64 v[10:11], v[25:26], v[10:11], -v[0:1]
	v_fma_f64 v[0:1], -v[25:26], v[8:9], v[2:3]
	v_fma_f64 v[2:3], v[27:28], v[8:9], v[17:18]
	v_fma_f64 v[17:18], v[25:26], v[8:9], v[19:20]
	;; [unrolled: 1-line block ×3, first 2 shown]
	ds_write_b128 v125, v[0:3] offset:2288
	ds_write_b128 v16, v[17:20] offset:20592
	v_add_co_u32_e32 v0, vcc, s4, v21
	v_addc_co_u32_e32 v1, vcc, 0, v22, vcc
	ds_read_b128 v[8:11], v125 offset:4576
	ds_read_b128 v[17:20], v16 offset:18304
	global_load_dwordx4 v[0:3], v[0:1], off offset:960
	s_mov_b32 s4, 0xe00740e9
	s_mov_b32 s5, 0x3fec55a7
	s_waitcnt lgkmcnt(0)
	v_add_f64 v[21:22], v[8:9], v[17:18]
	v_add_f64 v[23:24], v[19:20], v[10:11]
	v_add_f64 v[25:26], v[8:9], -v[17:18]
	v_add_f64 v[8:9], v[10:11], -v[19:20]
	s_waitcnt vmcnt(2)
	v_fma_f64 v[10:11], v[25:26], v[14:15], v[21:22]
	v_fma_f64 v[17:18], v[23:24], v[14:15], v[8:9]
	v_fma_f64 v[19:20], -v[25:26], v[14:15], v[21:22]
	v_fma_f64 v[14:15], v[23:24], v[14:15], -v[8:9]
	v_fma_f64 v[8:9], -v[23:24], v[12:13], v[10:11]
	v_fma_f64 v[10:11], v[25:26], v[12:13], v[17:18]
	v_fma_f64 v[17:18], v[23:24], v[12:13], v[19:20]
	;; [unrolled: 1-line block ×3, first 2 shown]
	ds_write_b128 v125, v[8:11] offset:4576
	ds_write_b128 v16, v[17:20] offset:18304
	ds_read_b128 v[17:20], v125 offset:6864
	ds_read_b128 v[21:24], v16 offset:16016
	s_waitcnt lgkmcnt(0)
	v_add_f64 v[12:13], v[17:18], v[21:22]
	v_add_f64 v[8:9], v[23:24], v[19:20]
	v_add_f64 v[10:11], v[17:18], -v[21:22]
	v_add_f64 v[14:15], v[19:20], -v[23:24]
	s_waitcnt vmcnt(1)
	v_fma_f64 v[17:18], v[10:11], v[6:7], v[12:13]
	v_fma_f64 v[19:20], v[8:9], v[6:7], v[14:15]
	v_fma_f64 v[21:22], -v[10:11], v[6:7], v[12:13]
	v_fma_f64 v[23:24], v[8:9], v[6:7], -v[14:15]
	v_fma_f64 v[12:13], -v[8:9], v[4:5], v[17:18]
	v_fma_f64 v[14:15], v[10:11], v[4:5], v[19:20]
	v_fma_f64 v[6:7], v[8:9], v[4:5], v[21:22]
	;; [unrolled: 1-line block ×3, first 2 shown]
	ds_write_b128 v125, v[12:15] offset:6864
	ds_write_b128 v16, v[6:9] offset:16016
	ds_read_b128 v[4:7], v125 offset:9152
	ds_read_b128 v[8:11], v16 offset:13728
	s_waitcnt lgkmcnt(0)
	v_add_f64 v[12:13], v[4:5], v[8:9]
	v_add_f64 v[14:15], v[10:11], v[6:7]
	v_add_f64 v[8:9], v[4:5], -v[8:9]
	v_add_f64 v[4:5], v[6:7], -v[10:11]
	s_waitcnt vmcnt(0)
	v_fma_f64 v[6:7], v[8:9], v[2:3], v[12:13]
	v_fma_f64 v[10:11], v[14:15], v[2:3], v[4:5]
	v_fma_f64 v[12:13], -v[8:9], v[2:3], v[12:13]
	v_fma_f64 v[17:18], v[14:15], v[2:3], -v[4:5]
	v_fma_f64 v[2:3], -v[14:15], v[0:1], v[6:7]
	v_fma_f64 v[4:5], v[8:9], v[0:1], v[10:11]
	v_fma_f64 v[6:7], v[14:15], v[0:1], v[12:13]
	;; [unrolled: 1-line block ×3, first 2 shown]
	ds_write_b128 v125, v[2:5] offset:9152
	ds_write_b128 v16, v[6:9] offset:13728
	s_waitcnt lgkmcnt(0)
	s_barrier
	s_barrier
	ds_read_b128 v[44:47], v125
	ds_read_b128 v[0:3], v125 offset:1760
	ds_read_b128 v[4:7], v125 offset:3520
	;; [unrolled: 1-line block ×12, first 2 shown]
	s_waitcnt lgkmcnt(11)
	v_add_f64 v[42:43], v[44:45], v[0:1]
	v_add_f64 v[53:54], v[46:47], v[2:3]
	s_waitcnt lgkmcnt(2)
	v_add_f64 v[111:112], v[8:9], v[38:39]
	s_waitcnt lgkmcnt(1)
	v_add_f64 v[150:151], v[6:7], -v[128:129]
	s_waitcnt lgkmcnt(0)
	v_add_f64 v[152:153], v[0:1], -v[130:131]
	v_add_f64 v[121:122], v[0:1], v[130:131]
	v_add_f64 v[148:149], v[2:3], -v[132:133]
	v_add_f64 v[123:124], v[2:3], v[132:133]
	v_add_f64 v[0:1], v[42:43], v[4:5]
	;; [unrolled: 1-line block ×3, first 2 shown]
	v_add_f64 v[154:155], v[4:5], -v[126:127]
	v_add_f64 v[113:114], v[10:11], v[40:41]
	v_mul_f64 v[99:100], v[152:153], s[26:27]
	v_mul_f64 v[119:120], v[152:153], s[22:23]
	;; [unrolled: 1-line block ×4, first 2 shown]
	v_add_f64 v[0:1], v[0:1], v[8:9]
	v_add_f64 v[2:3], v[2:3], v[10:11]
	v_add_f64 v[144:145], v[8:9], -v[38:39]
	v_add_f64 v[146:147], v[10:11], -v[40:41]
	v_add_f64 v[115:116], v[4:5], v[126:127]
	v_add_f64 v[117:118], v[6:7], v[128:129]
	v_mul_f64 v[77:78], v[150:151], s[22:23]
	v_mul_f64 v[81:82], v[154:155], s[22:23]
	v_add_f64 v[0:1], v[0:1], v[12:13]
	v_add_f64 v[2:3], v[2:3], v[14:15]
	v_mul_f64 v[95:96], v[150:151], s[24:25]
	v_mul_f64 v[97:98], v[154:155], s[24:25]
	v_fma_f64 v[8:9], v[121:122], s[4:5], v[85:86]
	v_fma_f64 v[10:11], v[123:124], s[4:5], -v[99:100]
	v_fma_f64 v[178:179], v[121:122], s[6:7], v[105:106]
	v_fma_f64 v[180:181], v[123:124], s[6:7], -v[119:120]
	v_add_f64 v[0:1], v[0:1], v[16:17]
	v_add_f64 v[2:3], v[2:3], v[18:19]
	v_add_f64 v[140:141], v[12:13], -v[34:35]
	v_add_f64 v[142:143], v[14:15], -v[36:37]
	v_mul_f64 v[67:68], v[146:147], s[20:21]
	v_mul_f64 v[73:74], v[144:145], s[20:21]
	;; [unrolled: 1-line block ×4, first 2 shown]
	v_add_f64 v[0:1], v[0:1], v[20:21]
	v_mul_f64 v[4:5], v[148:149], s[20:21]
	v_mul_f64 v[6:7], v[123:124], s[8:9]
	v_fma_f64 v[168:169], v[115:116], s[6:7], v[77:78]
	v_fma_f64 v[170:171], v[117:118], s[6:7], -v[81:82]
	v_fma_f64 v[184:185], v[115:116], s[14:15], v[95:96]
	v_fma_f64 v[186:187], v[117:118], s[14:15], -v[97:98]
	v_add_f64 v[2:3], v[2:3], v[22:23]
	v_add_f64 v[8:9], v[44:45], v[8:9]
	;; [unrolled: 1-line block ×6, first 2 shown]
	v_add_f64 v[136:137], v[16:17], -v[30:31]
	v_add_f64 v[138:139], v[18:19], -v[32:33]
	v_add_f64 v[107:108], v[12:13], v[34:35]
	v_add_f64 v[109:110], v[14:15], v[36:37]
	v_mul_f64 v[63:64], v[140:141], s[24:25]
	v_mul_f64 v[83:84], v[142:143], s[36:37]
	;; [unrolled: 1-line block ×5, first 2 shown]
	v_fma_f64 v[172:173], v[111:112], s[8:9], v[67:68]
	v_fma_f64 v[174:175], v[113:114], s[8:9], -v[73:74]
	v_fma_f64 v[194:195], v[111:112], s[16:17], v[91:92]
	v_fma_f64 v[12:13], v[113:114], s[16:17], -v[93:94]
	v_fma_f64 v[204:205], v[121:122], s[8:9], v[4:5]
	v_fma_f64 v[208:209], v[152:153], s[30:31], v[6:7]
	v_add_f64 v[2:3], v[2:3], v[26:27]
	v_add_f64 v[8:9], v[168:169], v[8:9]
	;; [unrolled: 1-line block ×6, first 2 shown]
	v_add_f64 v[28:29], v[20:21], -v[24:25]
	v_add_f64 v[134:135], v[22:23], -v[26:27]
	v_add_f64 v[101:102], v[16:17], v[30:31]
	v_add_f64 v[103:104], v[18:19], v[32:33]
	v_mul_f64 v[59:60], v[136:137], s[28:29]
	v_mul_f64 v[75:76], v[138:139], s[30:31]
	;; [unrolled: 1-line block ×5, first 2 shown]
	v_fma_f64 v[182:183], v[109:110], s[14:15], -v[63:64]
	v_fma_f64 v[196:197], v[107:108], s[18:19], v[83:84]
	v_fma_f64 v[198:199], v[109:110], s[18:19], -v[87:88]
	v_fma_f64 v[206:207], v[115:116], s[16:17], v[42:43]
	v_fma_f64 v[210:211], v[154:155], s[42:43], v[156:157]
	v_add_f64 v[2:3], v[2:3], v[32:33]
	v_fma_f64 v[30:31], v[121:122], s[8:9], -v[4:5]
	v_fma_f64 v[32:33], v[152:153], s[20:21], v[6:7]
	v_add_f64 v[4:5], v[172:173], v[8:9]
	v_add_f64 v[6:7], v[174:175], v[10:11]
	;; [unrolled: 1-line block ×9, first 2 shown]
	v_mul_f64 v[55:56], v[28:29], s[34:35]
	v_mul_f64 v[65:66], v[134:135], s[38:39]
	;; [unrolled: 1-line block ×4, first 2 shown]
	v_fma_f64 v[190:191], v[103:104], s[18:19], -v[59:60]
	v_fma_f64 v[200:201], v[101:102], s[8:9], v[75:76]
	v_fma_f64 v[202:203], v[103:104], s[8:9], -v[79:80]
	v_fma_f64 v[20:21], v[111:112], s[14:15], v[158:159]
	v_fma_f64 v[22:23], v[144:145], s[24:25], v[160:161]
	v_add_f64 v[6:7], v[182:183], v[6:7]
	v_add_f64 v[8:9], v[196:197], v[8:9]
	;; [unrolled: 1-line block ×5, first 2 shown]
	v_mul_f64 v[162:163], v[142:143], s[38:39]
	v_fma_f64 v[14:15], v[69:70], s[16:17], -v[55:56]
	v_fma_f64 v[16:17], v[89:90], s[4:5], v[65:66]
	v_fma_f64 v[18:19], v[69:70], s[4:5], -v[71:72]
	v_fma_f64 v[26:27], v[140:141], s[26:27], v[164:165]
	v_add_f64 v[6:7], v[190:191], v[6:7]
	v_add_f64 v[8:9], v[200:201], v[8:9]
	;; [unrolled: 1-line block ×5, first 2 shown]
	v_mul_f64 v[166:167], v[138:139], s[22:23]
	v_fma_f64 v[24:25], v[107:108], s[4:5], v[162:163]
	v_mul_f64 v[34:35], v[69:70], s[18:19]
	v_add_f64 v[6:7], v[14:15], v[6:7]
	v_add_f64 v[8:9], v[16:17], v[8:9]
	;; [unrolled: 1-line block ×4, first 2 shown]
	v_fma_f64 v[16:17], v[115:116], s[16:17], -v[42:43]
	v_add_f64 v[18:19], v[26:27], v[20:21]
	v_mul_f64 v[20:21], v[103:104], s[6:7]
	v_add_f64 v[12:13], v[24:25], v[12:13]
	v_fma_f64 v[22:23], v[101:102], s[6:7], v[166:167]
	v_add_f64 v[24:25], v[46:47], v[32:33]
	v_fma_f64 v[26:27], v[154:155], s[34:35], v[156:157]
	v_mul_f64 v[32:33], v[134:135], s[28:29]
	v_add_f64 v[14:15], v[16:17], v[14:15]
	v_fma_f64 v[16:17], v[111:112], s[14:15], -v[158:159]
	v_fma_f64 v[30:31], v[136:137], s[44:45], v[20:21]
	v_add_f64 v[2:3], v[2:3], v[36:37]
	v_add_f64 v[12:13], v[22:23], v[12:13]
	v_mul_f64 v[36:37], v[148:149], s[24:25]
	v_add_f64 v[24:25], v[26:27], v[24:25]
	v_fma_f64 v[26:27], v[144:145], s[40:41], v[160:161]
	v_fma_f64 v[22:23], v[89:90], s[18:19], v[32:33]
	v_add_f64 v[14:15], v[16:17], v[14:15]
	v_fma_f64 v[16:17], v[107:108], s[4:5], -v[162:163]
	v_add_f64 v[18:19], v[30:31], v[18:19]
	v_fma_f64 v[30:31], v[28:29], s[36:37], v[34:35]
	v_add_f64 v[0:1], v[0:1], v[38:39]
	v_add_f64 v[2:3], v[2:3], v[40:41]
	;; [unrolled: 1-line block ×3, first 2 shown]
	v_fma_f64 v[26:27], v[140:141], s[38:39], v[164:165]
	v_mul_f64 v[38:39], v[123:124], s[14:15]
	v_add_f64 v[16:17], v[16:17], v[14:15]
	v_fma_f64 v[40:41], v[101:102], s[6:7], -v[166:167]
	v_add_f64 v[12:13], v[22:23], v[12:13]
	v_add_f64 v[14:15], v[30:31], v[18:19]
	v_fma_f64 v[18:19], v[121:122], s[14:15], v[36:37]
	v_mul_f64 v[22:23], v[150:151], s[36:37]
	v_add_f64 v[24:25], v[26:27], v[24:25]
	v_fma_f64 v[26:27], v[152:153], s[40:41], v[38:39]
	v_mul_f64 v[30:31], v[117:118], s[18:19]
	v_add_f64 v[16:17], v[40:41], v[16:17]
	v_fma_f64 v[20:21], v[136:137], s[22:23], v[20:21]
	v_fma_f64 v[32:33], v[89:90], s[18:19], -v[32:33]
	v_add_f64 v[18:19], v[44:45], v[18:19]
	v_fma_f64 v[40:41], v[115:116], s[18:19], v[22:23]
	v_mul_f64 v[42:43], v[146:147], s[38:39]
	v_add_f64 v[0:1], v[0:1], v[126:127]
	v_add_f64 v[2:3], v[2:3], v[128:129]
	;; [unrolled: 1-line block ×3, first 2 shown]
	v_fma_f64 v[126:127], v[154:155], s[28:29], v[30:31]
	v_mul_f64 v[128:129], v[113:114], s[4:5]
	v_add_f64 v[20:21], v[20:21], v[24:25]
	v_fma_f64 v[24:25], v[28:29], s[28:29], v[34:35]
	v_add_f64 v[16:17], v[32:33], v[16:17]
	v_add_f64 v[32:33], v[40:41], v[18:19]
	v_fma_f64 v[34:35], v[111:112], s[4:5], v[42:43]
	v_mul_f64 v[40:41], v[142:143], s[20:21]
	v_add_f64 v[26:27], v[126:127], v[26:27]
	v_fma_f64 v[126:127], v[144:145], s[26:27], v[128:129]
	v_fma_f64 v[36:37], v[121:122], s[14:15], -v[36:37]
	v_add_f64 v[18:19], v[24:25], v[20:21]
	v_mul_f64 v[20:21], v[109:110], s[8:9]
	v_fma_f64 v[24:25], v[152:153], s[24:25], v[38:39]
	v_add_f64 v[32:33], v[34:35], v[32:33]
	v_fma_f64 v[34:35], v[107:108], s[8:9], v[40:41]
	v_mul_f64 v[38:39], v[138:139], s[42:43]
	v_add_f64 v[0:1], v[0:1], v[130:131]
	v_add_f64 v[2:3], v[2:3], v[132:133]
	v_add_f64 v[26:27], v[126:127], v[26:27]
	v_add_f64 v[36:37], v[44:45], v[36:37]
	v_fma_f64 v[22:23], v[115:116], s[18:19], -v[22:23]
	v_fma_f64 v[126:127], v[140:141], s[30:31], v[20:21]
	v_add_f64 v[24:25], v[46:47], v[24:25]
	v_fma_f64 v[30:31], v[154:155], s[36:37], v[30:31]
	v_add_f64 v[32:33], v[34:35], v[32:33]
	v_fma_f64 v[34:35], v[101:102], s[16:17], v[38:39]
	v_mul_f64 v[130:131], v[103:104], s[16:17]
	v_mul_f64 v[132:133], v[134:135], s[44:45]
	v_add_f64 v[22:23], v[22:23], v[36:37]
	v_fma_f64 v[36:37], v[111:112], s[4:5], -v[42:43]
	v_add_f64 v[26:27], v[126:127], v[26:27]
	v_add_f64 v[24:25], v[30:31], v[24:25]
	v_fma_f64 v[30:31], v[144:145], s[38:39], v[128:129]
	v_add_f64 v[32:33], v[34:35], v[32:33]
	v_fma_f64 v[34:35], v[136:137], s[34:35], v[130:131]
	v_fma_f64 v[42:43], v[89:90], s[6:7], v[132:133]
	v_mul_f64 v[126:127], v[69:70], s[6:7]
	v_add_f64 v[22:23], v[36:37], v[22:23]
	v_fma_f64 v[36:37], v[107:108], s[8:9], -v[40:41]
	v_mul_f64 v[40:41], v[148:149], s[28:29]
	v_add_f64 v[24:25], v[30:31], v[24:25]
	v_fma_f64 v[30:31], v[140:141], s[20:21], v[20:21]
	v_add_f64 v[26:27], v[34:35], v[26:27]
	v_add_f64 v[20:21], v[42:43], v[32:33]
	v_fma_f64 v[32:33], v[28:29], s[22:23], v[126:127]
	v_mul_f64 v[34:35], v[123:124], s[18:19]
	v_add_f64 v[36:37], v[36:37], v[22:23]
	v_fma_f64 v[42:43], v[121:122], s[18:19], v[40:41]
	v_mul_f64 v[128:129], v[150:151], s[30:31]
	v_add_f64 v[24:25], v[30:31], v[24:25]
	v_fma_f64 v[30:31], v[101:102], s[16:17], -v[38:39]
	v_fma_f64 v[38:39], v[136:137], s[42:43], v[130:131]
	v_add_f64 v[22:23], v[32:33], v[26:27]
	v_fma_f64 v[26:27], v[152:153], s[36:37], v[34:35]
	v_mul_f64 v[32:33], v[117:118], s[8:9]
	v_fma_f64 v[40:41], v[121:122], s[18:19], -v[40:41]
	v_fma_f64 v[34:35], v[152:153], s[28:29], v[34:35]
	v_add_f64 v[42:43], v[44:45], v[42:43]
	v_add_f64 v[30:31], v[30:31], v[36:37]
	;; [unrolled: 1-line block ×3, first 2 shown]
	v_fma_f64 v[24:25], v[89:90], s[6:7], -v[132:133]
	v_add_f64 v[26:27], v[46:47], v[26:27]
	v_fma_f64 v[38:39], v[154:155], s[20:21], v[32:33]
	v_mul_f64 v[132:133], v[113:114], s[6:7]
	v_fma_f64 v[130:131], v[115:116], s[8:9], v[128:129]
	v_mul_f64 v[156:157], v[146:147], s[22:23]
	v_mul_f64 v[160:161], v[109:110], s[16:17]
	v_add_f64 v[40:41], v[44:45], v[40:41]
	v_fma_f64 v[128:129], v[115:116], s[8:9], -v[128:129]
	v_add_f64 v[34:35], v[46:47], v[34:35]
	v_add_f64 v[26:27], v[38:39], v[26:27]
	v_fma_f64 v[38:39], v[144:145], s[44:45], v[132:133]
	v_fma_f64 v[32:33], v[154:155], s[30:31], v[32:33]
	v_add_f64 v[42:43], v[130:131], v[42:43]
	v_fma_f64 v[130:131], v[111:112], s[6:7], v[156:157]
	v_mul_f64 v[158:159], v[142:143], s[42:43]
	v_fma_f64 v[126:127], v[28:29], s[44:45], v[126:127]
	v_add_f64 v[40:41], v[128:129], v[40:41]
	v_fma_f64 v[128:129], v[111:112], s[6:7], -v[156:157]
	v_add_f64 v[26:27], v[38:39], v[26:27]
	v_fma_f64 v[38:39], v[140:141], s[34:35], v[160:161]
	v_add_f64 v[32:33], v[32:33], v[34:35]
	v_fma_f64 v[34:35], v[144:145], s[22:23], v[132:133]
	;; [unrolled: 2-line block ×3, first 2 shown]
	v_mul_f64 v[162:163], v[138:139], s[38:39]
	v_add_f64 v[24:25], v[24:25], v[30:31]
	v_add_f64 v[30:31], v[128:129], v[40:41]
	;; [unrolled: 1-line block ×4, first 2 shown]
	v_fma_f64 v[36:37], v[107:108], s[16:17], -v[158:159]
	v_add_f64 v[32:33], v[34:35], v[32:33]
	v_fma_f64 v[34:35], v[140:141], s[42:43], v[160:161]
	v_mul_f64 v[164:165], v[103:104], s[4:5]
	v_add_f64 v[42:43], v[130:131], v[42:43]
	v_fma_f64 v[130:131], v[101:102], s[4:5], v[162:163]
	v_mul_f64 v[126:127], v[148:149], s[34:35]
	v_mul_f64 v[150:151], v[150:151], s[38:39]
	v_add_f64 v[30:31], v[36:37], v[30:31]
	v_mul_f64 v[36:37], v[123:124], s[16:17]
	v_add_f64 v[32:33], v[34:35], v[32:33]
	v_fma_f64 v[34:35], v[101:102], s[4:5], -v[162:163]
	v_mul_f64 v[160:161], v[117:118], s[4:5]
	v_add_f64 v[40:41], v[130:131], v[42:43]
	v_fma_f64 v[130:131], v[136:137], s[38:39], v[164:165]
	v_fma_f64 v[148:149], v[121:122], s[16:17], v[126:127]
	v_mul_f64 v[146:147], v[146:147], s[28:29]
	v_fma_f64 v[158:159], v[152:153], s[42:43], v[36:37]
	v_fma_f64 v[36:37], v[152:153], s[34:35], v[36:37]
	v_add_f64 v[34:35], v[34:35], v[30:31]
	v_fma_f64 v[30:31], v[121:122], s[16:17], -v[126:127]
	v_fma_f64 v[152:153], v[154:155], s[26:27], v[160:161]
	v_add_f64 v[32:33], v[130:131], v[32:33]
	v_add_f64 v[126:127], v[44:45], v[148:149]
	v_fma_f64 v[130:131], v[115:116], s[4:5], v[150:151]
	v_add_f64 v[148:149], v[46:47], v[158:159]
	v_mul_f64 v[158:159], v[113:114], s[18:19]
	v_fma_f64 v[150:151], v[115:116], s[4:5], -v[150:151]
	v_add_f64 v[30:31], v[44:45], v[30:31]
	v_fma_f64 v[154:155], v[154:155], s[38:39], v[160:161]
	v_add_f64 v[36:37], v[46:47], v[36:37]
	v_mul_f64 v[61:62], v[142:143], s[24:25]
	v_add_f64 v[126:127], v[130:131], v[126:127]
	v_add_f64 v[130:131], v[152:153], v[148:149]
	v_fma_f64 v[148:149], v[111:112], s[18:19], v[146:147]
	v_fma_f64 v[152:153], v[144:145], s[36:37], v[158:159]
	v_mul_f64 v[142:143], v[142:143], s[44:45]
	v_mul_f64 v[160:161], v[109:110], s[6:7]
	v_add_f64 v[30:31], v[150:151], v[30:31]
	v_add_f64 v[36:37], v[154:155], v[36:37]
	v_fma_f64 v[146:147], v[111:112], s[18:19], -v[146:147]
	v_fma_f64 v[144:145], v[144:145], s[28:29], v[158:159]
	v_mul_f64 v[57:58], v[138:139], s[28:29]
	v_fma_f64 v[176:177], v[107:108], s[14:15], v[61:62]
	v_add_f64 v[126:127], v[148:149], v[126:127]
	v_add_f64 v[130:131], v[152:153], v[130:131]
	v_fma_f64 v[148:149], v[107:108], s[6:7], v[142:143]
	v_fma_f64 v[150:151], v[140:141], s[22:23], v[160:161]
	v_mul_f64 v[138:139], v[138:139], s[24:25]
	v_mul_f64 v[152:153], v[103:104], s[14:15]
	v_add_f64 v[30:31], v[146:147], v[30:31]
	v_add_f64 v[36:37], v[144:145], v[36:37]
	v_fma_f64 v[142:143], v[107:108], s[6:7], -v[142:143]
	v_fma_f64 v[140:141], v[140:141], s[44:45], v[160:161]
	v_mul_f64 v[53:54], v[134:135], s[34:35]
	v_fma_f64 v[188:189], v[101:102], s[18:19], v[57:58]
	v_add_f64 v[4:5], v[176:177], v[4:5]
	v_fma_f64 v[132:133], v[136:137], s[26:27], v[164:165]
	v_mul_f64 v[42:43], v[134:135], s[24:25]
	v_mul_f64 v[128:129], v[69:70], s[14:15]
	v_add_f64 v[126:127], v[148:149], v[126:127]
	v_add_f64 v[130:131], v[150:151], v[130:131]
	v_fma_f64 v[144:145], v[101:102], s[14:15], v[138:139]
	v_fma_f64 v[146:147], v[136:137], s[40:41], v[152:153]
	v_mul_f64 v[134:135], v[134:135], s[30:31]
	v_mul_f64 v[148:149], v[69:70], s[8:9]
	v_add_f64 v[30:31], v[142:143], v[30:31]
	v_add_f64 v[36:37], v[140:141], v[36:37]
	v_fma_f64 v[138:139], v[101:102], s[14:15], -v[138:139]
	v_fma_f64 v[136:137], v[136:137], s[24:25], v[152:153]
	v_fma_f64 v[192:193], v[89:90], s[16:17], v[53:54]
	v_add_f64 v[4:5], v[188:189], v[4:5]
	v_add_f64 v[38:39], v[132:133], v[38:39]
	v_fma_f64 v[132:133], v[89:90], s[14:15], v[42:43]
	v_fma_f64 v[156:157], v[28:29], s[40:41], v[128:129]
	v_fma_f64 v[42:43], v[89:90], s[14:15], -v[42:43]
	v_fma_f64 v[128:129], v[28:29], s[24:25], v[128:129]
	v_add_f64 v[126:127], v[144:145], v[126:127]
	v_add_f64 v[130:131], v[146:147], v[130:131]
	v_fma_f64 v[140:141], v[89:90], s[8:9], v[134:135]
	v_fma_f64 v[142:143], v[28:29], s[20:21], v[148:149]
	v_add_f64 v[138:139], v[138:139], v[30:31]
	v_add_f64 v[136:137], v[136:137], v[36:37]
	v_fma_f64 v[36:37], v[89:90], s[8:9], -v[134:135]
	v_fma_f64 v[134:135], v[28:29], s[30:31], v[148:149]
	v_add_f64 v[4:5], v[192:193], v[4:5]
	v_add_f64 v[28:29], v[132:133], v[40:41]
	;; [unrolled: 1-line block ×9, first 2 shown]
	s_movk_i32 s20, 0x6e
	v_cmp_gt_u32_e32 vcc, s20, v52
	s_barrier
	s_and_saveexec_b64 s[20:21], vcc
	s_cbranch_execz .LBB0_21
; %bb.20:
	v_mul_f64 v[126:127], v[121:122], s[4:5]
	v_mul_f64 v[121:122], v[121:122], s[6:7]
	;; [unrolled: 1-line block ×8, first 2 shown]
	v_add_f64 v[85:86], v[126:127], -v[85:86]
	v_add_f64 v[105:106], v[121:122], -v[105:106]
	v_add_f64 v[99:100], v[99:100], v[128:129]
	v_add_f64 v[119:120], v[119:120], v[123:124]
	v_mul_f64 v[134:135], v[111:112], s[8:9]
	v_add_f64 v[77:78], v[130:131], -v[77:78]
	v_mul_f64 v[136:137], v[113:114], s[8:9]
	v_mul_f64 v[111:112], v[111:112], s[16:17]
	v_mul_f64 v[113:114], v[113:114], s[16:17]
	v_add_f64 v[105:106], v[44:45], v[105:106]
	v_add_f64 v[44:45], v[44:45], v[85:86]
	;; [unrolled: 1-line block ×4, first 2 shown]
	v_add_f64 v[95:96], v[115:116], -v[95:96]
	v_add_f64 v[81:82], v[81:82], v[132:133]
	v_add_f64 v[46:47], v[46:47], v[99:100]
	v_mul_f64 v[138:139], v[107:108], s[14:15]
	v_add_f64 v[67:68], v[134:135], -v[67:68]
	v_add_f64 v[44:45], v[77:78], v[44:45]
	v_mul_f64 v[140:141], v[109:110], s[14:15]
	v_mul_f64 v[107:108], v[107:108], s[18:19]
	v_mul_f64 v[109:110], v[109:110], s[18:19]
	v_add_f64 v[85:86], v[93:94], v[113:114]
	v_add_f64 v[93:94], v[97:98], v[117:118]
	v_add_f64 v[91:92], v[111:112], -v[91:92]
	v_add_f64 v[95:96], v[95:96], v[105:106]
	v_add_f64 v[73:74], v[73:74], v[136:137]
	v_add_f64 v[46:47], v[81:82], v[46:47]
	v_mul_f64 v[142:143], v[101:102], s[18:19]
	v_add_f64 v[61:62], v[138:139], -v[61:62]
	v_add_f64 v[44:45], v[67:68], v[44:45]
	v_mul_f64 v[144:145], v[103:104], s[18:19]
	v_mul_f64 v[101:102], v[101:102], s[8:9]
	v_mul_f64 v[103:104], v[103:104], s[8:9]
	v_add_f64 v[77:78], v[87:88], v[109:110]
	v_add_f64 v[81:82], v[85:86], v[93:94]
	v_add_f64 v[83:84], v[107:108], -v[83:84]
	v_add_f64 v[85:86], v[91:92], v[95:96]
	;; [unrolled: 12-line block ×3, first 2 shown]
	v_add_f64 v[59:60], v[59:60], v[144:145]
	v_add_f64 v[46:47], v[63:64], v[46:47]
	v_add_f64 v[53:54], v[146:147], -v[53:54]
	v_add_f64 v[57:58], v[57:58], v[44:45]
	v_add_f64 v[61:62], v[71:72], v[69:70]
	;; [unrolled: 1-line block ×3, first 2 shown]
	v_add_f64 v[65:66], v[89:90], -v[65:66]
	v_add_f64 v[67:68], v[75:76], v[77:78]
	v_add_f64 v[55:56], v[55:56], v[123:124]
	;; [unrolled: 1-line block ×3, first 2 shown]
	s_movk_i32 s4, 0xc0
	v_add_f64 v[53:54], v[53:54], v[57:58]
	v_mad_u32_u24 v57, v52, s4, v125
	v_add_f64 v[46:47], v[61:62], v[63:64]
	v_add_f64 v[44:45], v[65:66], v[67:68]
	;; [unrolled: 1-line block ×3, first 2 shown]
	ds_write_b128 v57, v[0:3]
	ds_write_b128 v57, v[4:7] offset:16
	ds_write_b128 v57, v[8:11] offset:32
	;; [unrolled: 1-line block ×12, first 2 shown]
.LBB0_21:
	s_or_b64 exec, exec, s[20:21]
	s_movk_i32 s4, 0x82
	v_cmp_gt_u32_e32 vcc, s4, v52
	s_waitcnt lgkmcnt(0)
	s_barrier
	s_and_saveexec_b64 s[4:5], vcc
	s_cbranch_execz .LBB0_23
; %bb.22:
	ds_read_b128 v[0:3], v125
	ds_read_b128 v[4:7], v125 offset:2080
	ds_read_b128 v[8:11], v125 offset:4160
	;; [unrolled: 1-line block ×10, first 2 shown]
.LBB0_23:
	s_or_b64 exec, exec, s[4:5]
	s_waitcnt lgkmcnt(0)
	s_barrier
	s_and_saveexec_b64 s[4:5], vcc
	s_cbranch_execz .LBB0_25
; %bb.24:
	s_movk_i32 s6, 0x4f
	v_mul_lo_u16_sdwa v44, v52, s6 dst_sel:DWORD dst_unused:UNUSED_PAD src0_sel:BYTE_0 src1_sel:DWORD
	v_lshrrev_b16_e32 v44, 10, v44
	v_mul_lo_u16_e32 v45, 13, v44
	v_sub_u16_e32 v45, v52, v45
	v_mov_b32_e32 v46, 10
	v_mul_u32_u24_sdwa v46, v45, v46 dst_sel:DWORD dst_unused:UNUSED_PAD src0_sel:BYTE_0 src1_sel:DWORD
	v_lshlrev_b32_e32 v46, 4, v46
	global_load_dwordx4 v[53:56], v46, s[12:13] offset:64
	global_load_dwordx4 v[57:60], v46, s[12:13] offset:80
	;; [unrolled: 1-line block ×8, first 2 shown]
	global_load_dwordx4 v[85:88], v46, s[12:13]
	global_load_dwordx4 v[89:92], v46, s[12:13] offset:144
	s_mov_b32 s26, 0xfd768dbf
	s_mov_b32 s27, 0xbfd207e7
	s_mov_b32 s30, 0xf8bb580b
	s_mov_b32 s22, 0x9bcd5057
	s_mov_b32 s31, 0x3fe14ced
	s_mov_b32 s23, 0xbfeeb42a
	s_mov_b32 s20, 0xbb3a28a1
	s_mov_b32 s24, 0x8764f0ba
	s_mov_b32 s21, 0xbfe82f19
	s_mov_b32 s25, 0x3feaeb8c
	s_mov_b32 s8, 0x43842ef
	s_mov_b32 s18, 0x7f775887
	s_mov_b32 s9, 0xbfefac9e
	s_mov_b32 s17, 0x3fed1bb4
	s_mov_b32 s16, 0x8eee2c13
	s_mov_b32 s19, 0xbfe4f49e
	s_mov_b32 s6, 0x640f44db
	s_mov_b32 s14, 0xd9c712b6
	s_mov_b32 s7, 0xbfc2375f
	s_mov_b32 s15, 0x3fda9628
	s_mov_b32 s35, 0x3fefac9e
	s_mov_b32 s34, s8
	s_mov_b32 s29, 0xbfe14ced
	s_mov_b32 s28, s30
	s_mov_b32 s37, 0x3fd207e7
	s_mov_b32 s36, s26
	v_mul_u32_u24_e32 v44, 0x8f0, v44
	s_waitcnt vmcnt(9)
	v_mul_f64 v[46:47], v[30:31], v[55:56]
	s_waitcnt vmcnt(8)
	v_mul_f64 v[93:94], v[34:35], v[59:60]
	v_mul_f64 v[55:56], v[28:29], v[55:56]
	;; [unrolled: 1-line block ×3, first 2 shown]
	s_waitcnt vmcnt(7)
	v_mul_f64 v[95:96], v[22:23], v[63:64]
	v_mul_f64 v[63:64], v[20:21], v[63:64]
	s_waitcnt vmcnt(5)
	v_mul_f64 v[99:100], v[14:15], v[71:72]
	s_waitcnt vmcnt(4)
	v_mul_f64 v[101:102], v[42:43], v[75:76]
	v_mul_f64 v[71:72], v[12:13], v[71:72]
	;; [unrolled: 1-line block ×3, first 2 shown]
	s_waitcnt vmcnt(1)
	v_mul_f64 v[107:108], v[6:7], v[87:88]
	s_waitcnt vmcnt(0)
	v_mul_f64 v[109:110], v[18:19], v[91:92]
	v_mul_f64 v[97:98], v[38:39], v[67:68]
	;; [unrolled: 1-line block ×8, first 2 shown]
	v_fma_f64 v[46:47], v[28:29], v[53:54], v[46:47]
	v_fma_f64 v[32:33], v[32:33], v[57:58], v[93:94]
	v_fma_f64 v[53:54], v[30:31], v[53:54], -v[55:56]
	v_fma_f64 v[34:35], v[34:35], v[57:58], -v[59:60]
	v_fma_f64 v[55:56], v[20:21], v[61:62], v[95:96]
	v_fma_f64 v[57:58], v[22:23], v[61:62], -v[63:64]
	v_fma_f64 v[40:41], v[40:41], v[73:74], v[101:102]
	v_fma_f64 v[61:62], v[14:15], v[69:70], -v[71:72]
	v_fma_f64 v[42:43], v[42:43], v[73:74], -v[75:76]
	v_fma_f64 v[71:72], v[4:5], v[85:86], v[107:108]
	v_fma_f64 v[73:74], v[16:17], v[89:90], v[109:110]
	v_mul_f64 v[83:84], v[24:25], v[83:84]
	v_fma_f64 v[36:37], v[36:37], v[65:66], v[97:98]
	v_fma_f64 v[38:39], v[38:39], v[65:66], -v[67:68]
	v_fma_f64 v[63:64], v[8:9], v[77:78], v[103:104]
	v_fma_f64 v[65:66], v[24:25], v[81:82], v[105:106]
	v_fma_f64 v[67:68], v[10:11], v[77:78], -v[79:80]
	v_fma_f64 v[75:76], v[6:7], v[85:86], -v[87:88]
	;; [unrolled: 1-line block ×3, first 2 shown]
	v_add_f64 v[95:96], v[71:72], -v[73:74]
	v_fma_f64 v[59:60], v[12:13], v[69:70], v[99:100]
	v_fma_f64 v[69:70], v[26:27], v[81:82], -v[83:84]
	v_add_f64 v[115:116], v[71:72], v[73:74]
	v_add_f64 v[91:92], v[63:64], -v[65:66]
	v_add_f64 v[79:80], v[46:47], -v[32:33]
	;; [unrolled: 1-line block ×3, first 2 shown]
	v_add_f64 v[97:98], v[75:76], v[77:78]
	v_add_f64 v[117:118], v[75:76], -v[77:78]
	v_mul_f64 v[12:13], v[95:96], s[26:27]
	v_add_f64 v[87:88], v[59:60], -v[40:41]
	v_add_f64 v[93:94], v[67:68], v[69:70]
	v_add_f64 v[113:114], v[67:68], -v[69:70]
	v_mul_f64 v[10:11], v[91:92], s[30:31]
	v_add_f64 v[89:90], v[61:62], v[42:43]
	v_add_f64 v[105:106], v[57:58], -v[38:39]
	v_mul_f64 v[20:21], v[117:118], s[26:27]
	v_fma_f64 v[121:122], v[97:98], s[22:23], v[12:13]
	v_fma_f64 v[12:13], v[97:98], s[22:23], -v[12:13]
	v_add_f64 v[109:110], v[61:62], -v[42:43]
	v_add_f64 v[111:112], v[63:64], v[65:66]
	v_mul_f64 v[8:9], v[87:88], s[20:21]
	v_mul_f64 v[22:23], v[113:114], s[30:31]
	v_fma_f64 v[130:131], v[93:94], s[24:25], v[10:11]
	v_fma_f64 v[123:124], v[115:116], s[22:23], -v[20:21]
	v_fma_f64 v[10:11], v[93:94], s[24:25], -v[10:11]
	v_add_f64 v[12:13], v[2:3], v[12:13]
	v_add_f64 v[81:82], v[53:54], v[34:35]
	;; [unrolled: 1-line block ×5, first 2 shown]
	v_mul_f64 v[4:5], v[79:80], s[8:9]
	v_mul_f64 v[6:7], v[83:84], s[16:17]
	v_mul_f64 v[16:17], v[105:106], s[16:17]
	v_mul_f64 v[18:19], v[109:110], s[20:21]
	v_mul_f64 v[28:29], v[95:96], s[20:21]
	v_fma_f64 v[132:133], v[111:112], s[24:25], -v[22:23]
	v_add_f64 v[121:122], v[2:3], v[121:122]
	v_add_f64 v[123:124], v[0:1], v[123:124]
	v_fma_f64 v[134:135], v[89:90], s[18:19], v[8:9]
	v_fma_f64 v[8:9], v[89:90], s[18:19], -v[8:9]
	v_fma_f64 v[20:21], v[115:116], s[22:23], v[20:21]
	v_add_f64 v[10:11], v[10:11], v[12:13]
	v_mul_f64 v[26:27], v[91:92], s[34:35]
	v_mul_f64 v[119:120], v[117:118], s[20:21]
	v_fma_f64 v[126:127], v[81:82], s[6:7], v[4:5]
	v_fma_f64 v[128:129], v[85:86], s[14:15], v[6:7]
	v_fma_f64 v[138:139], v[107:108], s[18:19], -v[18:19]
	v_add_f64 v[121:122], v[130:131], v[121:122]
	v_add_f64 v[123:124], v[132:133], v[123:124]
	v_fma_f64 v[12:13], v[103:104], s[14:15], -v[16:17]
	v_fma_f64 v[130:131], v[81:82], s[6:7], -v[4:5]
	;; [unrolled: 1-line block ×3, first 2 shown]
	v_fma_f64 v[6:7], v[111:112], s[24:25], v[22:23]
	v_add_f64 v[20:21], v[0:1], v[20:21]
	v_add_f64 v[8:9], v[8:9], v[10:11]
	v_fma_f64 v[10:11], v[103:104], s[14:15], v[16:17]
	v_fma_f64 v[16:17], v[97:98], s[18:19], v[28:29]
	v_mul_f64 v[24:25], v[87:88], s[28:29]
	v_mul_f64 v[30:31], v[113:114], s[34:35]
	v_add_f64 v[22:23], v[134:135], v[121:122]
	v_add_f64 v[121:122], v[138:139], v[123:124]
	v_fma_f64 v[18:19], v[107:108], s[18:19], v[18:19]
	v_fma_f64 v[123:124], v[115:116], s[18:19], -v[119:120]
	v_add_f64 v[6:7], v[6:7], v[20:21]
	v_add_f64 v[8:9], v[4:5], v[8:9]
	v_fma_f64 v[4:5], v[93:94], s[6:7], v[26:27]
	v_add_f64 v[16:17], v[2:3], v[16:17]
	v_add_f64 v[101:102], v[53:54], -v[34:35]
	v_add_f64 v[20:21], v[128:129], v[22:23]
	v_add_f64 v[12:13], v[12:13], v[121:122]
	v_mul_f64 v[22:23], v[109:110], s[28:29]
	v_fma_f64 v[121:122], v[111:112], s[6:7], -v[30:31]
	v_add_f64 v[123:124], v[0:1], v[123:124]
	v_add_f64 v[6:7], v[18:19], v[6:7]
	v_mul_f64 v[18:19], v[83:84], s[26:27]
	v_fma_f64 v[128:129], v[89:90], s[24:25], v[24:25]
	v_fma_f64 v[28:29], v[97:98], s[18:19], -v[28:29]
	v_add_f64 v[4:5], v[4:5], v[16:17]
	v_add_f64 v[99:100], v[46:47], v[32:33]
	v_mul_f64 v[14:15], v[101:102], s[8:9]
	v_mul_f64 v[16:17], v[105:106], s[26:27]
	v_fma_f64 v[132:133], v[107:108], s[24:25], -v[22:23]
	v_add_f64 v[121:122], v[121:122], v[123:124]
	v_mul_f64 v[123:124], v[79:80], s[16:17]
	v_fma_f64 v[134:135], v[85:86], s[22:23], v[18:19]
	v_fma_f64 v[26:27], v[93:94], s[6:7], -v[26:27]
	v_add_f64 v[28:29], v[2:3], v[28:29]
	v_add_f64 v[4:5], v[128:129], v[4:5]
	v_fma_f64 v[136:137], v[99:100], s[6:7], -v[14:15]
	v_mul_f64 v[128:129], v[101:102], s[16:17]
	v_fma_f64 v[138:139], v[103:104], s[22:23], -v[16:17]
	v_add_f64 v[121:122], v[132:133], v[121:122]
	v_fma_f64 v[14:15], v[99:100], s[6:7], v[14:15]
	v_add_f64 v[132:133], v[10:11], v[6:7]
	v_fma_f64 v[10:11], v[89:90], s[24:25], -v[24:25]
	v_add_f64 v[24:25], v[26:27], v[28:29]
	v_fma_f64 v[26:27], v[81:82], s[14:15], v[123:124]
	v_add_f64 v[28:29], v[134:135], v[4:5]
	v_fma_f64 v[134:135], v[99:100], s[14:15], -v[128:129]
	v_add_f64 v[121:122], v[138:139], v[121:122]
	v_add_f64 v[6:7], v[126:127], v[20:21]
	v_fma_f64 v[18:19], v[85:86], s[22:23], -v[18:19]
	v_add_f64 v[4:5], v[136:137], v[12:13]
	v_add_f64 v[20:21], v[10:11], v[24:25]
	;; [unrolled: 1-line block ×5, first 2 shown]
	v_mul_f64 v[26:27], v[95:96], s[8:9]
	v_fma_f64 v[28:29], v[115:116], s[18:19], v[119:120]
	v_mul_f64 v[119:120], v[117:118], s[8:9]
	v_add_f64 v[12:13], v[134:135], v[121:122]
	v_add_f64 v[18:19], v[18:19], v[20:21]
	v_mul_f64 v[20:21], v[91:92], s[36:37]
	v_mul_f64 v[130:131], v[113:114], s[36:37]
	v_fma_f64 v[24:25], v[81:82], s[14:15], -v[123:124]
	v_fma_f64 v[121:122], v[97:98], s[6:7], v[26:27]
	v_fma_f64 v[30:31], v[111:112], s[6:7], v[30:31]
	v_fma_f64 v[132:133], v[115:116], s[6:7], -v[119:120]
	v_fma_f64 v[119:120], v[115:116], s[6:7], v[119:120]
	v_add_f64 v[28:29], v[0:1], v[28:29]
	v_fma_f64 v[123:124], v[99:100], s[14:15], v[128:129]
	v_mul_f64 v[126:127], v[87:88], s[16:17]
	v_fma_f64 v[128:129], v[93:94], s[22:23], v[20:21]
	v_add_f64 v[121:122], v[2:3], v[121:122]
	v_mul_f64 v[136:137], v[109:110], s[16:17]
	v_fma_f64 v[138:139], v[111:112], s[22:23], -v[130:131]
	v_fma_f64 v[130:131], v[111:112], s[22:23], v[130:131]
	v_add_f64 v[119:120], v[0:1], v[119:120]
	v_add_f64 v[28:29], v[30:31], v[28:29]
	v_mul_f64 v[30:31], v[83:84], s[28:29]
	v_fma_f64 v[134:135], v[89:90], s[14:15], v[126:127]
	v_add_f64 v[132:133], v[0:1], v[132:133]
	v_add_f64 v[121:122], v[128:129], v[121:122]
	v_fma_f64 v[26:27], v[97:98], s[6:7], -v[26:27]
	v_mul_f64 v[140:141], v[105:106], s[28:29]
	v_fma_f64 v[142:143], v[107:108], s[14:15], -v[136:137]
	v_fma_f64 v[136:137], v[107:108], s[14:15], v[136:137]
	v_add_f64 v[119:120], v[130:131], v[119:120]
	v_add_f64 v[75:76], v[2:3], v[75:76]
	;; [unrolled: 1-line block ×3, first 2 shown]
	v_fma_f64 v[22:23], v[107:108], s[24:25], v[22:23]
	v_fma_f64 v[128:129], v[85:86], s[24:25], v[30:31]
	v_add_f64 v[132:133], v[138:139], v[132:133]
	v_add_f64 v[121:122], v[134:135], v[121:122]
	v_fma_f64 v[20:21], v[93:94], s[22:23], -v[20:21]
	v_add_f64 v[26:27], v[2:3], v[26:27]
	v_mul_f64 v[134:135], v[101:102], s[20:21]
	v_fma_f64 v[138:139], v[103:104], s[24:25], -v[140:141]
	v_fma_f64 v[140:141], v[103:104], s[24:25], v[140:141]
	v_add_f64 v[119:120], v[136:137], v[119:120]
	s_mov_b32 s17, 0xbfed1bb4
	v_add_f64 v[67:68], v[75:76], v[67:68]
	v_add_f64 v[63:64], v[71:72], v[63:64]
	v_fma_f64 v[16:17], v[103:104], s[22:23], v[16:17]
	v_add_f64 v[22:23], v[22:23], v[28:29]
	v_mul_f64 v[28:29], v[79:80], s[20:21]
	v_add_f64 v[132:133], v[142:143], v[132:133]
	v_add_f64 v[121:122], v[128:129], v[121:122]
	v_mul_f64 v[128:129], v[95:96], s[16:17]
	v_add_f64 v[20:21], v[20:21], v[26:27]
	v_fma_f64 v[26:27], v[99:100], s[18:19], -v[134:135]
	v_fma_f64 v[134:135], v[99:100], s[18:19], v[134:135]
	v_add_f64 v[119:120], v[140:141], v[119:120]
	v_mul_f64 v[95:96], v[95:96], s[28:29]
	v_add_f64 v[61:62], v[67:68], v[61:62]
	v_add_f64 v[59:60], v[63:64], v[59:60]
	;; [unrolled: 1-line block ×3, first 2 shown]
	v_fma_f64 v[22:23], v[81:82], s[18:19], v[28:29]
	v_add_f64 v[132:133], v[138:139], v[132:133]
	v_mul_f64 v[138:139], v[91:92], s[20:21]
	v_mul_f64 v[136:137], v[79:80], s[30:31]
	v_add_f64 v[18:19], v[24:25], v[18:19]
	v_add_f64 v[24:25], v[134:135], v[119:120]
	v_mul_f64 v[91:92], v[91:92], s[16:17]
	v_fma_f64 v[134:135], v[97:98], s[24:25], v[95:96]
	v_add_f64 v[57:58], v[61:62], v[57:58]
	v_add_f64 v[55:56], v[59:60], v[55:56]
	v_fma_f64 v[126:127], v[89:90], s[14:15], -v[126:127]
	v_mul_f64 v[148:149], v[87:88], s[36:37]
	v_fma_f64 v[140:141], v[81:82], s[24:25], v[136:137]
	v_add_f64 v[22:23], v[22:23], v[121:122]
	v_fma_f64 v[121:122], v[81:82], s[24:25], -v[136:137]
	v_mul_f64 v[87:88], v[87:88], s[8:9]
	v_fma_f64 v[136:137], v[93:94], s[14:15], v[91:92]
	v_add_f64 v[134:135], v[2:3], v[134:135]
	v_mul_f64 v[59:60], v[117:118], s[28:29]
	v_mul_f64 v[142:143], v[117:118], s[16:17]
	v_fma_f64 v[144:145], v[97:98], s[14:15], v[128:129]
	v_fma_f64 v[119:120], v[97:98], s[14:15], -v[128:129]
	v_fma_f64 v[95:96], v[97:98], s[24:25], -v[95:96]
	v_add_f64 v[53:54], v[57:58], v[53:54]
	v_add_f64 v[46:47], v[55:56], v[46:47]
	v_fma_f64 v[30:31], v[85:86], s[24:25], -v[30:31]
	v_add_f64 v[20:21], v[126:127], v[20:21]
	v_mul_f64 v[130:131], v[83:84], s[34:35]
	v_mul_f64 v[83:84], v[83:84], s[20:21]
	v_fma_f64 v[71:72], v[89:90], s[6:7], v[87:88]
	v_add_f64 v[75:76], v[136:137], v[134:135]
	v_mul_f64 v[97:98], v[113:114], s[16:17]
	v_fma_f64 v[55:56], v[115:116], s[24:25], v[59:60]
	v_mul_f64 v[126:127], v[113:114], s[20:21]
	v_fma_f64 v[146:147], v[115:116], s[14:15], -v[142:143]
	v_add_f64 v[16:17], v[123:124], v[16:17]
	v_fma_f64 v[123:124], v[115:116], s[14:15], v[142:143]
	v_add_f64 v[144:145], v[2:3], v[144:145]
	v_add_f64 v[119:120], v[2:3], v[119:120]
	v_fma_f64 v[59:60], v[115:116], s[24:25], -v[59:60]
	v_fma_f64 v[91:92], v[93:94], s[14:15], -v[91:92]
	v_add_f64 v[2:3], v[2:3], v[95:96]
	v_add_f64 v[34:35], v[53:54], v[34:35]
	;; [unrolled: 1-line block ×3, first 2 shown]
	v_fma_f64 v[150:151], v[93:94], s[18:19], v[138:139]
	v_add_f64 v[30:31], v[30:31], v[20:21]
	v_add_f64 v[20:21], v[26:27], v[132:133]
	v_fma_f64 v[132:133], v[93:94], s[18:19], -v[138:139]
	v_fma_f64 v[63:64], v[85:86], s[18:19], v[83:84]
	v_add_f64 v[67:68], v[71:72], v[75:76]
	v_mul_f64 v[57:58], v[109:110], s[8:9]
	v_fma_f64 v[93:94], v[111:112], s[14:15], v[97:98]
	v_add_f64 v[46:47], v[0:1], v[55:56]
	v_mul_f64 v[152:153], v[109:110], s[36:37]
	v_fma_f64 v[154:155], v[111:112], s[18:19], -v[126:127]
	v_add_f64 v[146:147], v[0:1], v[146:147]
	v_fma_f64 v[126:127], v[111:112], s[18:19], v[126:127]
	v_add_f64 v[123:124], v[0:1], v[123:124]
	v_fma_f64 v[53:54], v[111:112], s[14:15], -v[97:98]
	v_add_f64 v[0:1], v[0:1], v[59:60]
	v_fma_f64 v[55:56], v[89:90], s[6:7], -v[87:88]
	v_add_f64 v[2:3], v[91:92], v[2:3]
	v_add_f64 v[34:35], v[34:35], v[38:39]
	;; [unrolled: 1-line block ×4, first 2 shown]
	v_mul_f64 v[67:68], v[105:106], s[20:21]
	v_fma_f64 v[59:60], v[107:108], s[6:7], v[57:58]
	v_add_f64 v[36:37], v[93:94], v[46:47]
	v_fma_f64 v[156:157], v[89:90], s[22:23], v[148:149]
	v_add_f64 v[144:145], v[150:151], v[144:145]
	v_mul_f64 v[150:151], v[105:106], s[34:35]
	v_add_f64 v[146:147], v[154:155], v[146:147]
	v_fma_f64 v[154:155], v[85:86], s[6:7], v[130:131]
	v_fma_f64 v[128:129], v[85:86], s[6:7], -v[130:131]
	v_fma_f64 v[130:131], v[89:90], s[22:23], -v[148:149]
	v_add_f64 v[119:120], v[132:133], v[119:120]
	v_fma_f64 v[132:133], v[107:108], s[22:23], v[152:153]
	v_add_f64 v[123:124], v[126:127], v[123:124]
	v_fma_f64 v[158:159], v[107:108], s[22:23], -v[152:153]
	v_mul_f64 v[79:80], v[79:80], s[26:27]
	v_fma_f64 v[38:39], v[107:108], s[6:7], -v[57:58]
	v_add_f64 v[0:1], v[53:54], v[0:1]
	v_fma_f64 v[46:47], v[85:86], s[18:19], -v[83:84]
	v_add_f64 v[2:3], v[55:56], v[2:3]
	v_add_f64 v[34:35], v[34:35], v[42:43]
	;; [unrolled: 1-line block ×3, first 2 shown]
	v_mul_f64 v[63:64], v[101:102], s[26:27]
	v_fma_f64 v[53:54], v[103:104], s[18:19], v[67:68]
	v_add_f64 v[36:37], v[59:60], v[36:37]
	v_add_f64 v[144:145], v[156:157], v[144:145]
	v_mul_f64 v[156:157], v[101:102], s[30:31]
	v_add_f64 v[119:120], v[130:131], v[119:120]
	v_fma_f64 v[126:127], v[103:104], s[6:7], v[150:151]
	v_add_f64 v[123:124], v[132:133], v[123:124]
	v_fma_f64 v[160:161], v[103:104], s[6:7], -v[150:151]
	v_add_f64 v[146:147], v[158:159], v[146:147]
	v_fma_f64 v[40:41], v[103:104], s[18:19], -v[67:68]
	;; [unrolled: 2-line block ×3, first 2 shown]
	v_add_f64 v[42:43], v[46:47], v[2:3]
	v_add_f64 v[55:56], v[34:35], v[69:70]
	;; [unrolled: 1-line block ×3, first 2 shown]
	v_fma_f64 v[46:47], v[99:100], s[22:23], v[63:64]
	v_add_f64 v[53:54], v[53:54], v[36:37]
	v_add_f64 v[71:72], v[128:129], v[119:120]
	v_fma_f64 v[75:76], v[99:100], s[24:25], v[156:157]
	v_add_f64 v[119:120], v[126:127], v[123:124]
	v_fma_f64 v[28:29], v[81:82], s[18:19], -v[28:29]
	v_add_f64 v[144:145], v[154:155], v[144:145]
	v_fma_f64 v[154:155], v[99:100], s[24:25], -v[156:157]
	v_add_f64 v[146:147], v[160:161], v[146:147]
	v_fma_f64 v[123:124], v[81:82], s[22:23], v[79:80]
	v_fma_f64 v[57:58], v[99:100], s[22:23], -v[63:64]
	v_add_f64 v[40:41], v[40:41], v[0:1]
	v_add_f64 v[34:35], v[38:39], v[42:43]
	;; [unrolled: 1-line block ×8, first 2 shown]
	v_mov_b32_e32 v46, 4
	v_lshlrev_b32_sdwa v45, v46, v45 dst_sel:DWORD dst_unused:UNUSED_PAD src0_sel:DWORD src1_sel:BYTE_0
	v_add3_u32 v44, 0, v44, v45
	v_add_f64 v[30:31], v[140:141], v[144:145]
	v_add_f64 v[28:29], v[154:155], v[146:147]
	;; [unrolled: 1-line block ×4, first 2 shown]
	ds_write_b128 v44, v[36:39]
	ds_write_b128 v44, v[32:35] offset:208
	ds_write_b128 v44, v[0:3] offset:416
	;; [unrolled: 1-line block ×10, first 2 shown]
.LBB0_25:
	s_or_b64 exec, exec, s[4:5]
	v_mul_u32_u24_e32 v0, 9, v52
	v_lshlrev_b32_e32 v36, 4, v0
	s_waitcnt lgkmcnt(0)
	s_barrier
	global_load_dwordx4 v[0:3], v36, s[12:13] offset:2080
	global_load_dwordx4 v[4:7], v36, s[12:13] offset:2096
	;; [unrolled: 1-line block ×9, first 2 shown]
	ds_read_b128 v[36:39], v125
	ds_read_b128 v[40:43], v125 offset:2288
	ds_read_b128 v[44:47], v125 offset:4576
	;; [unrolled: 1-line block ×9, first 2 shown]
	s_mov_b32 s14, 0x134454ff
	s_mov_b32 s15, 0xbfee6f0e
	;; [unrolled: 1-line block ×12, first 2 shown]
	s_waitcnt vmcnt(0) lgkmcnt(0)
	s_barrier
	v_mul_f64 v[81:82], v[42:43], v[2:3]
	v_mul_f64 v[2:3], v[40:41], v[2:3]
	;; [unrolled: 1-line block ×18, first 2 shown]
	v_fma_f64 v[40:41], v[40:41], v[0:1], v[81:82]
	v_fma_f64 v[0:1], v[42:43], v[0:1], -v[2:3]
	v_fma_f64 v[2:3], v[44:45], v[4:5], v[83:84]
	v_fma_f64 v[4:5], v[46:47], v[4:5], -v[6:7]
	v_fma_f64 v[6:7], v[53:54], v[8:9], v[85:86]
	v_fma_f64 v[8:9], v[55:56], v[8:9], -v[10:11]
	v_fma_f64 v[10:11], v[57:58], v[12:13], v[87:88]
	v_fma_f64 v[12:13], v[59:60], v[12:13], -v[14:15]
	v_fma_f64 v[14:15], v[61:62], v[16:17], v[89:90]
	v_fma_f64 v[16:17], v[63:64], v[16:17], -v[18:19]
	v_fma_f64 v[18:19], v[65:66], v[20:21], v[91:92]
	v_fma_f64 v[20:21], v[67:68], v[20:21], -v[22:23]
	v_fma_f64 v[22:23], v[75:76], v[28:29], -v[30:31]
	v_fma_f64 v[30:31], v[69:70], v[24:25], v[93:94]
	v_fma_f64 v[24:25], v[71:72], v[24:25], -v[26:27]
	v_fma_f64 v[26:27], v[73:74], v[28:29], v[95:96]
	v_fma_f64 v[28:29], v[77:78], v[32:33], v[97:98]
	v_fma_f64 v[32:33], v[79:80], v[32:33], -v[34:35]
	v_add_f64 v[34:35], v[36:37], v[2:3]
	v_add_f64 v[42:43], v[10:11], v[18:19]
	v_add_f64 v[53:54], v[2:3], -v[10:11]
	v_add_f64 v[63:64], v[38:39], v[4:5]
	v_add_f64 v[65:66], v[12:13], v[20:21]
	v_add_f64 v[55:56], v[26:27], -v[18:19]
	;; [unrolled: 3-line block ×3, first 2 shown]
	v_add_f64 v[46:47], v[12:13], -v[20:21]
	v_add_f64 v[59:60], v[10:11], -v[2:3]
	;; [unrolled: 1-line block ×7, first 2 shown]
	v_add_f64 v[79:80], v[14:15], v[30:31]
	v_add_f64 v[10:11], v[34:35], v[10:11]
	v_fma_f64 v[34:35], v[42:43], -0.5, v[36:37]
	v_add_f64 v[42:43], v[53:54], v[55:56]
	v_fma_f64 v[36:37], v[57:58], -0.5, v[36:37]
	;; [unrolled: 2-line block ×3, first 2 shown]
	v_fma_f64 v[38:39], v[73:74], -0.5, v[38:39]
	v_add_f64 v[71:72], v[22:23], -v[20:21]
	v_add_f64 v[75:76], v[20:21], -v[22:23]
	v_add_f64 v[77:78], v[40:41], v[6:7]
	v_add_f64 v[81:82], v[8:9], -v[32:33]
	v_add_f64 v[53:54], v[59:60], v[61:62]
	v_fma_f64 v[61:62], v[79:80], -0.5, v[40:41]
	v_add_f64 v[10:11], v[10:11], v[18:19]
	v_fma_f64 v[18:19], v[44:45], s[14:15], v[34:35]
	v_fma_f64 v[34:35], v[44:45], s[6:7], v[34:35]
	;; [unrolled: 1-line block ×4, first 2 shown]
	v_add_f64 v[12:13], v[12:13], v[20:21]
	v_fma_f64 v[20:21], v[2:3], s[6:7], v[55:56]
	v_fma_f64 v[55:56], v[2:3], s[14:15], v[55:56]
	;; [unrolled: 1-line block ×4, first 2 shown]
	v_add_f64 v[83:84], v[16:17], -v[24:25]
	v_add_f64 v[85:86], v[6:7], -v[14:15]
	;; [unrolled: 1-line block ×3, first 2 shown]
	v_add_f64 v[57:58], v[69:70], v[71:72]
	v_add_f64 v[59:60], v[77:78], v[14:15]
	v_fma_f64 v[69:70], v[81:82], s[14:15], v[61:62]
	v_fma_f64 v[18:19], v[46:47], s[12:13], v[18:19]
	;; [unrolled: 1-line block ×7, first 2 shown]
	v_add_f64 v[26:27], v[10:11], v[26:27]
	v_add_f64 v[22:23], v[12:13], v[22:23]
	v_fma_f64 v[10:11], v[2:3], s[8:9], v[65:66]
	v_add_f64 v[12:13], v[16:17], v[24:25]
	v_add_f64 v[4:5], v[4:5], v[75:76]
	v_fma_f64 v[2:3], v[2:3], s[12:13], v[38:39]
	v_add_f64 v[89:90], v[6:7], v[28:29]
	v_fma_f64 v[55:56], v[42:43], s[4:5], v[18:19]
	v_fma_f64 v[34:35], v[42:43], s[4:5], v[34:35]
	;; [unrolled: 1-line block ×6, first 2 shown]
	v_add_f64 v[18:19], v[59:60], v[30:31]
	v_fma_f64 v[20:21], v[83:84], s[12:13], v[69:70]
	v_add_f64 v[38:39], v[85:86], v[87:88]
	v_fma_f64 v[53:54], v[81:82], s[6:7], v[61:62]
	v_fma_f64 v[12:13], v[12:13], -0.5, v[0:1]
	v_add_f64 v[57:58], v[6:7], -v[28:29]
	v_fma_f64 v[61:62], v[4:5], s[4:5], v[2:3]
	v_add_f64 v[2:3], v[8:9], v[32:33]
	v_fma_f64 v[40:41], v[89:90], -0.5, v[40:41]
	v_fma_f64 v[59:60], v[4:5], s[4:5], v[10:11]
	v_add_f64 v[63:64], v[18:19], v[28:29]
	v_fma_f64 v[10:11], v[38:39], s[4:5], v[20:21]
	v_fma_f64 v[18:19], v[83:84], s[8:9], v[53:54]
	;; [unrolled: 1-line block ×3, first 2 shown]
	v_add_f64 v[53:54], v[14:15], -v[30:31]
	v_add_f64 v[65:66], v[8:9], -v[16:17]
	;; [unrolled: 1-line block ×3, first 2 shown]
	v_fma_f64 v[2:3], v[2:3], -0.5, v[0:1]
	v_fma_f64 v[4:5], v[83:84], s[6:7], v[40:41]
	v_add_f64 v[6:7], v[14:15], -v[6:7]
	v_add_f64 v[14:15], v[30:31], -v[28:29]
	v_add_f64 v[0:1], v[0:1], v[8:9]
	v_fma_f64 v[28:29], v[83:84], s[14:15], v[40:41]
	v_fma_f64 v[20:21], v[53:54], s[8:9], v[20:21]
	v_add_f64 v[30:31], v[65:66], v[67:68]
	v_fma_f64 v[40:41], v[53:54], s[14:15], v[2:3]
	v_add_f64 v[8:9], v[16:17], -v[8:9]
	v_add_f64 v[65:66], v[24:25], -v[32:33]
	v_fma_f64 v[2:3], v[53:54], s[6:7], v[2:3]
	v_fma_f64 v[12:13], v[57:58], s[14:15], v[12:13]
	;; [unrolled: 1-line block ×3, first 2 shown]
	v_add_f64 v[0:1], v[0:1], v[16:17]
	v_add_f64 v[6:7], v[6:7], v[14:15]
	v_fma_f64 v[14:15], v[81:82], s[8:9], v[28:29]
	v_fma_f64 v[16:17], v[30:31], s[4:5], v[20:21]
	;; [unrolled: 1-line block ×3, first 2 shown]
	v_add_f64 v[8:9], v[8:9], v[65:66]
	v_fma_f64 v[2:3], v[57:58], s[12:13], v[2:3]
	v_fma_f64 v[12:13], v[53:54], s[12:13], v[12:13]
	v_add_f64 v[0:1], v[0:1], v[24:25]
	v_fma_f64 v[24:25], v[6:7], s[4:5], v[4:5]
	v_fma_f64 v[6:7], v[6:7], s[4:5], v[14:15]
	v_mul_f64 v[4:5], v[16:17], s[12:13]
	v_mul_f64 v[16:17], v[16:17], s[16:17]
	v_fma_f64 v[14:15], v[8:9], s[4:5], v[20:21]
	v_fma_f64 v[2:3], v[8:9], s[4:5], v[2:3]
	;; [unrolled: 1-line block ×4, first 2 shown]
	v_add_f64 v[38:39], v[0:1], v[32:33]
	v_add_f64 v[0:1], v[26:27], v[63:64]
	v_fma_f64 v[28:29], v[10:11], s[16:17], v[4:5]
	v_fma_f64 v[53:54], v[10:11], s[8:9], v[16:17]
	v_mul_f64 v[4:5], v[14:15], s[14:15]
	v_mul_f64 v[12:13], v[2:3], s[14:15]
	s_mov_b32 s15, 0xbfd3c6ef
	s_mov_b32 s14, s4
	v_mul_f64 v[14:15], v[14:15], s[4:5]
	v_mul_f64 v[20:21], v[8:9], s[12:13]
	s_mov_b32 s13, 0xbfe9e377
	s_mov_b32 s12, s16
	v_mul_f64 v[2:3], v[2:3], s[14:15]
	v_mul_f64 v[8:9], v[8:9], s[12:13]
	v_fma_f64 v[30:31], v[24:25], s[4:5], v[4:5]
	v_fma_f64 v[32:33], v[6:7], s[14:15], v[12:13]
	;; [unrolled: 1-line block ×4, first 2 shown]
	v_add_f64 v[4:5], v[55:56], v[28:29]
	v_add_f64 v[20:21], v[26:27], -v[63:64]
	v_fma_f64 v[65:66], v[6:7], s[6:7], v[2:3]
	v_fma_f64 v[67:68], v[18:19], s[8:9], v[8:9]
	v_add_f64 v[2:3], v[22:23], v[38:39]
	v_add_f64 v[6:7], v[46:47], v[53:54]
	;; [unrolled: 1-line block ×8, first 2 shown]
	v_add_f64 v[22:23], v[22:23], -v[38:39]
	v_add_f64 v[24:25], v[55:56], -v[28:29]
	;; [unrolled: 1-line block ×9, first 2 shown]
	ds_write_b128 v125, v[0:3]
	ds_write_b128 v125, v[4:7] offset:2288
	ds_write_b128 v125, v[8:11] offset:4576
	;; [unrolled: 1-line block ×9, first 2 shown]
	s_waitcnt lgkmcnt(0)
	s_barrier
	s_and_saveexec_b64 s[4:5], s[0:1]
	s_cbranch_execz .LBB0_27
; %bb.26:
	v_mul_lo_u32 v0, s3, v50
	v_mul_lo_u32 v1, s2, v51
	v_mad_u64_u32 v[4:5], s[0:1], s2, v50, 0
	v_mov_b32_e32 v6, s11
	v_lshl_add_u32 v10, v52, 4, 0
	v_add3_u32 v5, v5, v1, v0
	v_lshlrev_b64 v[4:5], 4, v[4:5]
	v_mov_b32_e32 v53, 0
	v_add_co_u32_e32 v7, vcc, s10, v4
	v_addc_co_u32_e32 v6, vcc, v6, v5, vcc
	v_lshlrev_b64 v[4:5], 4, v[48:49]
	ds_read_b128 v[0:3], v10
	v_add_co_u32_e32 v11, vcc, v7, v4
	v_addc_co_u32_e32 v12, vcc, v6, v5, vcc
	v_lshlrev_b64 v[4:5], 4, v[52:53]
	v_add_co_u32_e32 v8, vcc, v11, v4
	v_addc_co_u32_e32 v9, vcc, v12, v5, vcc
	ds_read_b128 v[4:7], v10 offset:2288
	s_waitcnt lgkmcnt(1)
	global_store_dwordx4 v[8:9], v[0:3], off
	s_nop 0
	v_add_u32_e32 v0, 0x8f, v52
	v_mov_b32_e32 v1, v53
	v_lshlrev_b64 v[0:1], 4, v[0:1]
	v_add_co_u32_e32 v0, vcc, v11, v0
	v_addc_co_u32_e32 v1, vcc, v12, v1, vcc
	s_waitcnt lgkmcnt(0)
	global_store_dwordx4 v[0:1], v[4:7], off
	ds_read_b128 v[0:3], v10 offset:4576
	v_add_u32_e32 v4, 0x11e, v52
	v_mov_b32_e32 v5, v53
	v_lshlrev_b64 v[4:5], 4, v[4:5]
	v_add_co_u32_e32 v8, vcc, v11, v4
	v_addc_co_u32_e32 v9, vcc, v12, v5, vcc
	ds_read_b128 v[4:7], v10 offset:6864
	s_waitcnt lgkmcnt(1)
	global_store_dwordx4 v[8:9], v[0:3], off
	s_nop 0
	v_add_u32_e32 v0, 0x1ad, v52
	v_mov_b32_e32 v1, v53
	v_lshlrev_b64 v[0:1], 4, v[0:1]
	v_add_co_u32_e32 v0, vcc, v11, v0
	v_addc_co_u32_e32 v1, vcc, v12, v1, vcc
	s_waitcnt lgkmcnt(0)
	global_store_dwordx4 v[0:1], v[4:7], off
	ds_read_b128 v[0:3], v10 offset:9152
	v_add_u32_e32 v4, 0x23c, v52
	v_mov_b32_e32 v5, v53
	;; [unrolled: 17-line block ×4, first 2 shown]
	v_lshlrev_b64 v[4:5], 4, v[4:5]
	v_add_u32_e32 v52, 0x507, v52
	v_add_co_u32_e32 v8, vcc, v11, v4
	v_addc_co_u32_e32 v9, vcc, v12, v5, vcc
	ds_read_b128 v[4:7], v10 offset:20592
	s_waitcnt lgkmcnt(1)
	global_store_dwordx4 v[8:9], v[0:3], off
	s_nop 0
	v_lshlrev_b64 v[0:1], 4, v[52:53]
	v_add_co_u32_e32 v0, vcc, v11, v0
	v_addc_co_u32_e32 v1, vcc, v12, v1, vcc
	s_waitcnt lgkmcnt(0)
	global_store_dwordx4 v[0:1], v[4:7], off
.LBB0_27:
	s_endpgm
	.section	.rodata,"a",@progbits
	.p2align	6, 0x0
	.amdhsa_kernel fft_rtc_back_len1430_factors_13_11_10_wgs_143_tpt_143_dp_op_CI_CI_unitstride_sbrr_C2R_dirReg
		.amdhsa_group_segment_fixed_size 0
		.amdhsa_private_segment_fixed_size 0
		.amdhsa_kernarg_size 104
		.amdhsa_user_sgpr_count 6
		.amdhsa_user_sgpr_private_segment_buffer 1
		.amdhsa_user_sgpr_dispatch_ptr 0
		.amdhsa_user_sgpr_queue_ptr 0
		.amdhsa_user_sgpr_kernarg_segment_ptr 1
		.amdhsa_user_sgpr_dispatch_id 0
		.amdhsa_user_sgpr_flat_scratch_init 0
		.amdhsa_user_sgpr_private_segment_size 0
		.amdhsa_uses_dynamic_stack 0
		.amdhsa_system_sgpr_private_segment_wavefront_offset 0
		.amdhsa_system_sgpr_workgroup_id_x 1
		.amdhsa_system_sgpr_workgroup_id_y 0
		.amdhsa_system_sgpr_workgroup_id_z 0
		.amdhsa_system_sgpr_workgroup_info 0
		.amdhsa_system_vgpr_workitem_id 0
		.amdhsa_next_free_vgpr 212
		.amdhsa_next_free_sgpr 46
		.amdhsa_reserve_vcc 1
		.amdhsa_reserve_flat_scratch 0
		.amdhsa_float_round_mode_32 0
		.amdhsa_float_round_mode_16_64 0
		.amdhsa_float_denorm_mode_32 3
		.amdhsa_float_denorm_mode_16_64 3
		.amdhsa_dx10_clamp 1
		.amdhsa_ieee_mode 1
		.amdhsa_fp16_overflow 0
		.amdhsa_exception_fp_ieee_invalid_op 0
		.amdhsa_exception_fp_denorm_src 0
		.amdhsa_exception_fp_ieee_div_zero 0
		.amdhsa_exception_fp_ieee_overflow 0
		.amdhsa_exception_fp_ieee_underflow 0
		.amdhsa_exception_fp_ieee_inexact 0
		.amdhsa_exception_int_div_zero 0
	.end_amdhsa_kernel
	.text
.Lfunc_end0:
	.size	fft_rtc_back_len1430_factors_13_11_10_wgs_143_tpt_143_dp_op_CI_CI_unitstride_sbrr_C2R_dirReg, .Lfunc_end0-fft_rtc_back_len1430_factors_13_11_10_wgs_143_tpt_143_dp_op_CI_CI_unitstride_sbrr_C2R_dirReg
                                        ; -- End function
	.section	.AMDGPU.csdata,"",@progbits
; Kernel info:
; codeLenInByte = 12240
; NumSgprs: 50
; NumVgprs: 212
; ScratchSize: 0
; MemoryBound: 0
; FloatMode: 240
; IeeeMode: 1
; LDSByteSize: 0 bytes/workgroup (compile time only)
; SGPRBlocks: 6
; VGPRBlocks: 52
; NumSGPRsForWavesPerEU: 50
; NumVGPRsForWavesPerEU: 212
; Occupancy: 1
; WaveLimiterHint : 1
; COMPUTE_PGM_RSRC2:SCRATCH_EN: 0
; COMPUTE_PGM_RSRC2:USER_SGPR: 6
; COMPUTE_PGM_RSRC2:TRAP_HANDLER: 0
; COMPUTE_PGM_RSRC2:TGID_X_EN: 1
; COMPUTE_PGM_RSRC2:TGID_Y_EN: 0
; COMPUTE_PGM_RSRC2:TGID_Z_EN: 0
; COMPUTE_PGM_RSRC2:TIDIG_COMP_CNT: 0
	.type	__hip_cuid_314ce57117842ddb,@object ; @__hip_cuid_314ce57117842ddb
	.section	.bss,"aw",@nobits
	.globl	__hip_cuid_314ce57117842ddb
__hip_cuid_314ce57117842ddb:
	.byte	0                               ; 0x0
	.size	__hip_cuid_314ce57117842ddb, 1

	.ident	"AMD clang version 19.0.0git (https://github.com/RadeonOpenCompute/llvm-project roc-6.4.0 25133 c7fe45cf4b819c5991fe208aaa96edf142730f1d)"
	.section	".note.GNU-stack","",@progbits
	.addrsig
	.addrsig_sym __hip_cuid_314ce57117842ddb
	.amdgpu_metadata
---
amdhsa.kernels:
  - .args:
      - .actual_access:  read_only
        .address_space:  global
        .offset:         0
        .size:           8
        .value_kind:     global_buffer
      - .offset:         8
        .size:           8
        .value_kind:     by_value
      - .actual_access:  read_only
        .address_space:  global
        .offset:         16
        .size:           8
        .value_kind:     global_buffer
      - .actual_access:  read_only
        .address_space:  global
        .offset:         24
        .size:           8
        .value_kind:     global_buffer
      - .actual_access:  read_only
        .address_space:  global
        .offset:         32
        .size:           8
        .value_kind:     global_buffer
      - .offset:         40
        .size:           8
        .value_kind:     by_value
      - .actual_access:  read_only
        .address_space:  global
        .offset:         48
        .size:           8
        .value_kind:     global_buffer
      - .actual_access:  read_only
        .address_space:  global
        .offset:         56
        .size:           8
        .value_kind:     global_buffer
      - .offset:         64
        .size:           4
        .value_kind:     by_value
      - .actual_access:  read_only
        .address_space:  global
        .offset:         72
        .size:           8
        .value_kind:     global_buffer
      - .actual_access:  read_only
        .address_space:  global
        .offset:         80
        .size:           8
        .value_kind:     global_buffer
      - .actual_access:  read_only
        .address_space:  global
        .offset:         88
        .size:           8
        .value_kind:     global_buffer
      - .actual_access:  write_only
        .address_space:  global
        .offset:         96
        .size:           8
        .value_kind:     global_buffer
    .group_segment_fixed_size: 0
    .kernarg_segment_align: 8
    .kernarg_segment_size: 104
    .language:       OpenCL C
    .language_version:
      - 2
      - 0
    .max_flat_workgroup_size: 143
    .name:           fft_rtc_back_len1430_factors_13_11_10_wgs_143_tpt_143_dp_op_CI_CI_unitstride_sbrr_C2R_dirReg
    .private_segment_fixed_size: 0
    .sgpr_count:     50
    .sgpr_spill_count: 0
    .symbol:         fft_rtc_back_len1430_factors_13_11_10_wgs_143_tpt_143_dp_op_CI_CI_unitstride_sbrr_C2R_dirReg.kd
    .uniform_work_group_size: 1
    .uses_dynamic_stack: false
    .vgpr_count:     212
    .vgpr_spill_count: 0
    .wavefront_size: 64
amdhsa.target:   amdgcn-amd-amdhsa--gfx906
amdhsa.version:
  - 1
  - 2
...

	.end_amdgpu_metadata
